;; amdgpu-corpus repo=ROCm/aiter kind=harvested arch=n/a opt=n/a

/root/src/amdgpu-assembly/repos/ROCm__aiter/hsa/gfx950/fmha_v3_bwd/bwd_hd64_bf16_a16_rtne.co:	file format elf64-amdgpu

Disassembly of section .text:

0000000000004000 <_ZN5aiter37fmha_bwd_hd64_bf16_a16_rtne_recompileE>:
	s_and_b32 s1, s1, 0xffff                                   // 000000004000: 8601FF01 0000FFFF
	s_load_dwordx2 s[32:33], s[0:1], 0x0                       // 000000004008: C0060800 00000000
	s_load_dwordx2 s[36:37], s[0:1], 0x10                      // 000000004010: C0060900 00000010
	s_load_dwordx2 s[40:41], s[0:1], 0x20                      // 000000004018: C0060A00 00000020
	s_load_dwordx2 s[8:9], s[0:1], 0x30                        // 000000004020: C0060200 00000030
	s_load_dwordx2 s[12:13], s[0:1], 0x40                      // 000000004028: C0060300 00000040
	s_load_dwordx2 s[16:17], s[0:1], 0x50                      // 000000004030: C0060400 00000050
	s_load_dwordx2 s[20:21], s[0:1], 0x60                      // 000000004038: C0060500 00000060
	s_load_dwordx2 s[24:25], s[0:1], 0x70                      // 000000004040: C0060600 00000070
	s_load_dwordx2 s[28:29], s[0:1], 0x80                      // 000000004048: C0060700 00000080
	s_load_dword s48, s[0:1], 0x90                             // 000000004050: C0020C00 00000090
	s_load_dword s49, s[0:1], 0xa0                             // 000000004058: C0020C40 000000A0
	s_load_dword s50, s[0:1], 0xb0                             // 000000004060: C0020C80 000000B0
	s_load_dword s51, s[0:1], 0xc0                             // 000000004068: C0020CC0 000000C0
	s_load_dword s52, s[0:1], 0xd0                             // 000000004070: C0020D00 000000D0
	s_load_dword s53, s[0:1], 0xe0                             // 000000004078: C0020D40 000000E0
	s_load_dword s70, s[0:1], 0xf0                             // 000000004080: C0021180 000000F0
	s_load_dword s44, s[0:1], 0x100                            // 000000004088: C0020B00 00000100
	s_load_dword s5, s[0:1], 0x110                             // 000000004090: C0020140 00000110
	s_load_dword s6, s[0:1], 0x120                             // 000000004098: C0020180 00000120
	s_load_dword s7, s[0:1], 0x130                             // 0000000040A0: C00201C0 00000130
	s_load_dword s46, s[0:1], 0x140                            // 0000000040A8: C0020B80 00000140
	s_load_dword s87, s[0:1], 0x180                            // 0000000040B0: C00215C0 00000180
	s_load_dword s86, s[0:1], 0x240                            // 0000000040B8: C0021580 00000240
	v_lshrrev_b32_e32 v1, 10, v0                               // 0000000040C0: 2002008A
	v_lshrrev_b32_e32 v2, 10, v1                               // 0000000040C4: 2004028A
	v_and_b32_e32 v2, 0x3ff, v2                                // 0000000040C8: 260404FF 000003FF
	v_and_b32_e32 v1, 0x3ff, v1                                // 0000000040D0: 260202FF 000003FF
	v_and_b32_e32 v0, 0x3ff, v0                                // 0000000040D8: 260000FF 000003FF
	v_lshrrev_b32_e32 v3, 6, v0                                // 0000000040E0: 20060086
	v_and_b32_e32 v0, 63, v0                                   // 0000000040E4: 260000BF
	s_mov_b32 s2, s2                                           // 0000000040E8: BE820002
	s_mov_b32 s3, s3                                           // 0000000040EC: BE830003
	s_mov_b32 s4, s4                                           // 0000000040F0: BE840004
	v_readfirstlane_b32 s47, v3                                // 0000000040F4: 7E5E0503
	s_waitcnt lgkmcnt(0)                                       // 0000000040F8: BF8CC07F
	s_mov_b32 s10, 0x80000000                                  // 0000000040FC: BE8A00FF 80000000
	s_mov_b32 s14, 0x80000000                                  // 000000004104: BE8E00FF 80000000
	s_mov_b32 s18, 0x80000000                                  // 00000000410C: BE9200FF 80000000
	s_mov_b32 s22, 0x80000000                                  // 000000004114: BE9600FF 80000000
	s_mov_b32 s26, 0x80000000                                  // 00000000411C: BE9A00FF 80000000
	s_mov_b32 s30, 0x80000000                                  // 000000004124: BE9E00FF 80000000
	s_mov_b32 s38, 0x80000000                                  // 00000000412C: BEA600FF 80000000
	s_mov_b32 s42, 0x80000000                                  // 000000004134: BEAA00FF 80000000
	s_mov_b32 s11, 0x20000                                     // 00000000413C: BE8B00FF 00020000
	s_mov_b32 s15, 0x20000                                     // 000000004144: BE8F00FF 00020000
	s_mov_b32 s19, 0x20000                                     // 00000000414C: BE9300FF 00020000
	s_mov_b32 s23, 0x20000                                     // 000000004154: BE9700FF 00020000
	s_mov_b32 s27, 0x20000                                     // 00000000415C: BE9B00FF 00020000
	s_mov_b32 s31, 0x20000                                     // 000000004164: BE9F00FF 00020000
	s_mov_b32 s39, 0x20000                                     // 00000000416C: BEA700FF 00020000
	s_mov_b32 s43, 0x20000                                     // 000000004174: BEAB00FF 00020000
	s_and_b32 s9, s9, 0xffff                                   // 00000000417C: 8609FF09 0000FFFF
	s_and_b32 s13, s13, 0xffff                                 // 000000004184: 860DFF0D 0000FFFF
	s_and_b32 s17, s17, 0xffff                                 // 00000000418C: 8611FF11 0000FFFF
	s_and_b32 s21, s21, 0xffff                                 // 000000004194: 8615FF15 0000FFFF
	s_and_b32 s25, s25, 0xffff                                 // 00000000419C: 8619FF19 0000FFFF
	s_and_b32 s29, s29, 0xffff                                 // 0000000041A4: 861DFF1D 0000FFFF
	s_and_b32 s37, s37, 0xffff                                 // 0000000041AC: 8625FF25 0000FFFF
	s_and_b32 s41, s41, 0xffff                                 // 0000000041B4: 8629FF29 0000FFFF
	s_or_b32 s9, s9, 0x40000                                   // 0000000041BC: 8709FF09 00040000
	s_or_b32 s13, s13, 0x40000                                 // 0000000041C4: 870DFF0D 00040000
	s_or_b32 s17, s17, 0x40000                                 // 0000000041CC: 8711FF11 00040000
	s_or_b32 s21, s21, 0x40000                                 // 0000000041D4: 8715FF15 00040000
	s_or_b32 s25, s25, 0x40000                                 // 0000000041DC: 8719FF19 00040000
	s_or_b32 s29, s29, 0x40000                                 // 0000000041E4: 871DFF1D 00040000
	s_or_b32 s37, s37, 0x40000                                 // 0000000041EC: 8725FF25 00040000
	s_or_b32 s41, s41, 0x40000                                 // 0000000041F4: 8729FF29 00040000
	v_accvgpr_write_b32 a159, 0                                // 0000000041FC: D3D9409F 18000080
	v_mov_b32_e32 v230, 0                                      // 000000004204: 7FCC0280
	s_mov_b32 s78, s8                                          // 000000004208: BECE0008
	s_mov_b32 s80, s12                                         // 00000000420C: BED0000C
	s_mov_b32 s82, s16                                         // 000000004210: BED20010
	s_mov_b32 s84, s20                                         // 000000004214: BED40014
	s_mov_b32 s79, s9                                          // 000000004218: BECF0009
	s_mov_b32 s81, s13                                         // 00000000421C: BED1000D
	s_mov_b32 s83, s17                                         // 000000004220: BED30011
	s_mov_b32 s85, s21                                         // 000000004224: BED50015
	s_mov_b32 s71, s3                                          // 000000004228: BEC70003
	v_cvt_f32_u32_e32 v32, s44                                 // 00000000422C: 7E400C2C
	s_sub_i32 s60, 0, s44                                      // 000000004230: 81BC2C80
	v_rcp_iflag_f32_e32 v32, v32                               // 000000004234: 7E404720
	s_nop 0                                                    // 000000004238: BF800000
	v_mul_f32_e32 v32, 0x4f7ffffe, v32                         // 00000000423C: 0A4040FF 4F7FFFFE
	v_cvt_u32_f32_e32 v32, v32                                 // 000000004244: 7E400F20
	v_mul_lo_u32 v33, s60, v32                                 // 000000004248: D2850021 0002403C
	v_mul_hi_u32 v33, v32, v33                                 // 000000004250: D2860021 00024320
	v_add_u32_e32 v32, v32, v33                                // 000000004258: 68404320
	v_mul_hi_u32 v32, s71, v32                                 // 00000000425C: D2860020 00024047
	v_mul_lo_u32 v33, v32, s44                                 // 000000004264: D2850021 00005920
	v_sub_u32_e32 v35, s71, v33                                // 00000000426C: 6A464247
	v_add_u32_e32 v34, 1, v32                                  // 000000004270: 68444081
	v_cmp_le_u32_e32 vcc, s44, v35                             // 000000004274: 7D96462C
	v_subrev_u32_e32 v33, s44, v35                             // 000000004278: 6C42462C
	s_nop 0                                                    // 00000000427C: BF800000
	v_cndmask_b32_e32 v32, v32, v34, vcc                       // 000000004280: 00404520
	v_cndmask_b32_e32 v35, v35, v33, vcc                       // 000000004284: 00464323
	v_add_u32_e32 v33, 1, v32                                  // 000000004288: 68424081
	v_cmp_le_u32_e32 vcc, s44, v35                             // 00000000428C: 7D96462C
	s_nop 1                                                    // 000000004290: BF800001
	v_cndmask_b32_e32 v35, v32, v33, vcc                       // 000000004294: 00464320
	s_nop 3                                                    // 000000004298: BF800003
	v_readfirstlane_b32 s45, v35                               // 00000000429C: 7E5A0523
	s_nop 3                                                    // 0000000042A0: BF800003
	v_mov_b32_e32 v32, s48                                     // 0000000042A4: 7E400230
	v_mul_f32_e32 v32, s49, v32                                // 0000000042A8: 0A404031
	s_mov_b32 s66, 0                                           // 0000000042AC: BEC20080
	s_mov_b32 s58, s50                                         // 0000000042B0: BEBA0032
	s_mov_b32 s59, 0                                           // 0000000042B4: BEBB0080
	s_mov_b32 s63, 0x5040100                                   // 0000000042B8: BEBF00FF 05040100
	s_mov_b32 s64, 0x7060302                                   // 0000000042C0: BEC000FF 07060302
	v_readfirstlane_b32 s57, v32                               // 0000000042C8: 7E720520
	v_mov_b32_e32 v34, 0x3020706                               // 0000000042CC: 7E4402FF 03020706
	v_mov_b32_e32 v32, s63                                     // 0000000042D4: 7E40023F
	v_and_b32_e32 v33, 1, v0                                   // 0000000042D8: 26420081
	v_cmp_eq_u32_e32 vcc, 1, v33                               // 0000000042DC: 7D944281
	s_mul_i32 s67, 32, s70                                     // 0000000042E0: 924346A0
	v_cndmask_b32_e32 v21, v32, v34, vcc                       // 0000000042E4: 002A4520
	v_mov_b32_e32 v227, 0xffff0000                             // 0000000042E8: 7FC602FF FFFF0000
	v_mov_b32_e32 v228, 0x7fff0000                             // 0000000042F0: 7FC802FF 7FFF0000
	v_mov_b32_e32 v229, 0x7fff                                 // 0000000042F8: 7FCA02FF 00007FFF
	s_cmp_lt_u32 s47, 2                                        // 000000004300: BF0A822F
	s_cselect_b32 s24, s24, s28                                // 000000004304: 85181C18
	s_cselect_b32 s25, s25, s29                                // 000000004308: 85191D19
	s_cselect_b32 s26, s26, s30                                // 00000000430C: 851A1E1A
	s_cselect_b32 s27, s27, s31                                // 000000004310: 851B1F1B
	s_lshr_b32 s60, s47, 1                                     // 000000004314: 8F3C812F
	s_lshl_b32 s60, s60, 8                                     // 000000004318: 8E3C883C
	s_add_u32 s76, 0x8b00, s60                                 // 00000000431C: 804C3CFF 00008B00
	s_add_u32 s77, 0x200, s76                                  // 000000004324: 804D4CFF 00000200
	s_mov_b32 m0, s76                                          // 00000000432C: BEFC004C
	v_mov_b32_e32 v230, 0xff800000                             // 000000004330: 7FCC02FF FF800000
	s_mul_i32 s68, 32, s70                                     // 000000004338: 924446A0
	s_mov_b32 s69, 32                                          // 00000000433C: BEC500A0
	s_mul_i32 s60, s2, s51                                     // 000000004340: 923C3302
	s_mul_i32 s61, s45, s5                                     // 000000004344: 923D052D
	s_add_u32 s54, s60, s61                                    // 000000004348: 80363D3C
	s_mul_i32 s61, s3, s52                                     // 00000000434C: 923D3403
	s_mov_b32 s55, s61                                         // 000000004350: BEB7003D
	s_mov_b32 s56, s55                                         // 000000004354: BEB80037
	s_mul_i32 s62, s4, s87                                     // 000000004358: 923E5704
	s_mul_i32 s62, s62, s86                                    // 00000000435C: 923E563E
	s_mul_i32 s61, s3, s86                                     // 000000004360: 923D5603
	s_add_u32 s65, s61, s62                                    // 000000004364: 80413E3D
	s_mov_b32 s71, s7                                          // 000000004368: BEC70007
	v_lshrrev_b32_e32 v32, 4, v0                               // 00000000436C: 20400084
	v_and_b32_e32 v33, 1, v32                                  // 000000004370: 26424081
	v_lshlrev_b32_e32 v33, 1, v33                              // 000000004374: 24424281
	v_mul_i32_i24_e32 v33, s71, v33                            // 000000004378: 0C424247
	v_and_b32_e32 v34, 2, v32                                  // 00000000437C: 26444082
	v_lshlrev_b32_e32 v34, 5, v34                              // 000000004380: 24444485
	v_add_u32_e32 v33, v34, v33                                // 000000004384: 68424322
	v_and_b32_e32 v32, 15, v0                                  // 000000004388: 2640008F
	v_lshlrev_b32_e32 v32, 2, v32                              // 00000000438C: 24404082
	v_add_u32_e32 v1, v32, v33                                 // 000000004390: 68024320
	s_mul_i32 s60, s47, s71                                    // 000000004394: 923C472F
	s_mul_i32 s60, s60, 4                                      // 000000004398: 923C843C
	v_add_u32_e32 v1, s60, v1                                  // 00000000439C: 6802023C
	v_add_u32_e32 v2, s71, v1                                  // 0000000043A0: 68040247
	s_mul_i32 s60, 16, s71                                     // 0000000043A4: 923C4790
	v_add_u32_e32 v3, s60, v1                                  // 0000000043A8: 6806023C
	v_add_u32_e32 v4, s60, v2                                  // 0000000043AC: 6808043C
	v_lshrrev_b32_e32 v1, 2, v1                                // 0000000043B0: 20020282
	v_lshrrev_b32_e32 v2, 2, v2                                // 0000000043B4: 20040482
	s_add_u32 s12, s54, s80                                    // 0000000043B8: 800C5036
	s_addc_u32 s13, 0, s81                                     // 0000000043BC: 820D5180
	s_mul_i32 s60, s4, s6                                      // 0000000043C0: 923C0604
	s_mul_hi_u32 s61, s4, s6                                   // 0000000043C4: 963D0604
	s_and_b32 s61, s61, 0xffff                                 // 0000000043C8: 863DFF3D 0000FFFF
	s_add_u32 s12, s12, s60                                    // 0000000043D0: 800C3C0C
	s_addc_u32 s13, s13, s61                                   // 0000000043D4: 820D3D0D
	s_add_u32 s16, s54, s82                                    // 0000000043D8: 80105236
	s_addc_u32 s17, 0, s83                                     // 0000000043DC: 82115380
	s_add_u32 s16, s16, s60                                    // 0000000043E0: 80103C10
	s_addc_u32 s17, s17, s61                                   // 0000000043E4: 82113D11
	s_add_u32 s8, s55, s78                                     // 0000000043E8: 80084E37
	s_addc_u32 s9, 0, s79                                      // 0000000043EC: 82094F80
	s_mul_i32 s60, s4, s53                                     // 0000000043F0: 923C3504
	s_mul_hi_u32 s61, s4, s53                                  // 0000000043F4: 963D3504
	s_and_b32 s61, s61, 0xffff                                 // 0000000043F8: 863DFF3D 0000FFFF
	s_add_u32 s8, s8, s60                                      // 000000004400: 80083C08
	s_addc_u32 s9, s9, s61                                     // 000000004404: 82093D09
	s_add_u32 s20, s56, s84                                    // 000000004408: 80145438
	s_addc_u32 s21, 0, s85                                     // 00000000440C: 82155580
	s_add_u32 s20, s20, s60                                    // 000000004410: 80143C14
	s_addc_u32 s21, s21, s61                                   // 000000004414: 82153D15
	v_and_b32_e32 v15, 31, v0                                  // 000000004418: 261E009F
	v_lshlrev_b32_e32 v15, 2, v15                              // 00000000441C: 241E1E82
	v_add_u32_e32 v15, s65, v15                                // 000000004420: 681E1E41
	v_lshrrev_b32_e32 v15, 2, v15                              // 000000004424: 201E1E82
	v_lshrrev_b32_e32 v32, 3, v0                               // 000000004428: 20400083
	v_mul_i32_i24_e32 v5, s46, v32                             // 00000000442C: 0C0A402E
	v_lshrrev_b32_e32 v5, 2, v5                                // 000000004430: 200A0A82
	v_and_b32_e32 v32, 7, v0                                   // 000000004434: 26400087
	v_lshlrev_b32_e32 v33, 2, v32                              // 000000004438: 24424082
	v_add_u32_e32 v5, v33, v5                                  // 00000000443C: 680A0B21
	s_mul_i32 s60, 16, s46                                     // 000000004440: 923C2E90
	s_mul_i32 s60, s47, s60                                    // 000000004444: 923C3C2F
	v_lshlrev_b32_e32 v5, 2, v5                                // 000000004448: 240A0A82
	v_add_u32_e32 v5, s60, v5                                  // 00000000444C: 680A0A3C
	s_mul_i32 s60, 0xc0, s46                                   // 000000004450: 923C2EFF 000000C0
	s_mul_i32 s60, s2, s60                                     // 000000004458: 923C3C02
	s_mul_i32 s61, s3, s5                                      // 00000000445C: 923D0503
	s_add_u32 s60, s60, s61                                    // 000000004460: 803C3D3C
	v_add_u32_e32 v5, s60, v5                                  // 000000004464: 680A0A3C
	v_lshrrev_b32_e32 v5, 2, v5                                // 000000004468: 200A0A82
	v_mov_b32_e32 v14, v5                                      // 00000000446C: 7E1C0305
	s_mul_i32 s60, s6, s44                                     // 000000004470: 923C2C06
	s_mul_i32 s62, s4, s60                                     // 000000004474: 923E3C04
	s_mul_hi_u32 s60, s4, s60                                  // 000000004478: 963C3C04
	s_and_b32 s60, s60, 0xffff                                 // 00000000447C: 863CFF3C 0000FFFF
	s_add_u32 s36, s36, s62                                    // 000000004484: 80243E24
	s_addc_u32 s37, s37, s60                                   // 000000004488: 82253C25
	s_add_u32 s40, s40, s62                                    // 00000000448C: 80283E28
	s_addc_u32 s41, s41, s60                                   // 000000004490: 82293C29
	v_lshrrev_b32_e32 v32, 5, v0                               // 000000004494: 20400085
	v_mul_i32_i24_e32 v6, s70, v32                             // 000000004498: 0C0C4046
	v_lshrrev_b32_e32 v6, 2, v6                                // 00000000449C: 200C0C82
	v_and_b32_e32 v32, 31, v0                                  // 0000000044A0: 2640009F
	v_add_u32_e32 v6, v32, v6                                  // 0000000044A4: 680C0D20
	s_mul_i32 s60, s70, 2                                      // 0000000044A8: 923C8246
	s_mul_i32 s60, s47, s60                                    // 0000000044AC: 923C3C2F
	v_add_u32_e32 v6, s60, v6                                  // 0000000044B0: 680C0C3C
	v_lshlrev_b32_e32 v6, 2, v6                                // 0000000044B4: 240C0C82
	s_mul_i32 s60, 2, s70                                      // 0000000044B8: 923C4682
	v_add_u32_e32 v7, s60, v6                                  // 0000000044BC: 680E0C3C
	v_add_u32_e32 v8, s60, v7                                  // 0000000044C0: 68100E3C
	v_add_u32_e32 v9, s60, v8                                  // 0000000044C4: 6812103C
	s_mov_b32 s72, s55                                         // 0000000044C8: BEC80037
	v_add_u32_e32 v12, s72, v9                                 // 0000000044CC: 68181248
	v_add_u32_e32 v10, s72, v8                                 // 0000000044D0: 68141048
	v_add_u32_e32 v8, s72, v7                                  // 0000000044D4: 68100E48
	v_add_u32_e32 v6, s72, v6                                  // 0000000044D8: 680C0C48
	v_mov_b32_e32 v7, 0                                        // 0000000044DC: 7E0E0280
	v_mov_b32_e32 v9, 0                                        // 0000000044E0: 7E120280
	v_mov_b32_e32 v11, 0                                       // 0000000044E4: 7E160280
	v_mov_b32_e32 v13, 0                                       // 0000000044E8: 7E1A0280
	s_mul_i32 s60, s4, s53                                     // 0000000044EC: 923C3504
	s_mul_hi_u32 s61, s4, s53                                  // 0000000044F0: 963D3504
	s_and_b32 s61, s61, 0xffff                                 // 0000000044F4: 863DFF3D 0000FFFF
	s_add_u32 s32, s32, s60                                    // 0000000044FC: 80203C20
	s_addc_u32 s33, s33, s61                                   // 000000004500: 82213D21
	s_mul_i32 s60, 3, s2                                       // 000000004504: 923C0283
	s_lshr_b32 s61, s50, 6                                     // 000000004508: 8F3D8632
	s_sub_i32 s73, s61, s60                                    // 00000000450C: 81C93C3D
	s_cmp_lt_i32 s73, 3                                        // 000000004510: BF048349
	s_cselect_b32 s73, s73, 3                                  // 000000004514: 85498349
	v_and_b32_e32 v32, 31, v0                                  // 000000004518: 2640009F
	v_lshrrev_b32_e32 v32, 1, v32                              // 00000000451C: 20404081
	v_and_b32_e32 v33, 1, v32                                  // 000000004520: 26424081
	v_lshlrev_b32_e32 v33, 4, v33                              // 000000004524: 24424284
	v_and_b32_e32 v34, 2, v32                                  // 000000004528: 26444082
	v_lshlrev_b32_e32 v34, 2, v34                              // 00000000452C: 24444482
	v_add_u32_e32 v33, v34, v33                                // 000000004530: 68424322
	v_and_b32_e32 v34, 12, v32                                 // 000000004534: 2644408C
	v_lshrrev_b32_e32 v34, 1, v34                              // 000000004538: 20444481
	v_add_u32_e32 v33, v34, v33                                // 00000000453C: 68424322
	v_lshrrev_b32_e32 v32, 5, v0                               // 000000004540: 20400085
	v_mul_i32_i24_e32 v34, 0x80, v32                           // 000000004544: 0C4440FF 00000080
	v_add_u32_e32 v33, v34, v33                                // 00000000454C: 68424322
	v_and_b32_e32 v34, 1, v0                                   // 000000004550: 26440081
	v_add_u32_e32 v17, v34, v33                                // 000000004554: 68224322
	s_mul_i32 s60, s47, 32                                     // 000000004558: 923CA02F
	v_add_u32_e32 v17, s60, v17                                // 00000000455C: 6822223C
	v_lshlrev_b32_e32 v17, 2, v17                              // 000000004560: 24222282
	v_lshrrev_b32_e32 v32, 4, v0                               // 000000004564: 20400084
	v_and_b32_e32 v33, 1, v32                                  // 000000004568: 26424081
	v_lshlrev_b32_e32 v33, 4, v33                              // 00000000456C: 24424284
	v_and_b32_e32 v34, 2, v32                                  // 000000004570: 26444082
	v_mul_i32_i24_e32 v34, 4, v34                              // 000000004574: 0C444484
	v_add_u32_e32 v33, v34, v33                                // 000000004578: 68424322
	v_and_b32_e32 v32, 15, v0                                  // 00000000457C: 2640008F
	v_lshrrev_b32_e32 v34, 2, v32                              // 000000004580: 20444082
	v_lshlrev_b32_e32 v34, 5, v34                              // 000000004584: 24444485
	v_add_u32_e32 v33, v34, v33                                // 000000004588: 68424322
	v_and_b32_e32 v32, 3, v0                                   // 00000000458C: 26400083
	v_and_b32_e32 v34, 1, v32                                  // 000000004590: 26444081
	v_mul_i32_i24_e32 v34, 0x108, v34                          // 000000004594: 0C4444FF 00000108
	v_add_u32_e32 v33, v34, v33                                // 00000000459C: 68424322
	v_and_b32_e32 v34, 2, v32                                  // 0000000045A0: 26444082
	v_lshlrev_b32_e32 v34, 1, v34                              // 0000000045A4: 24444481
	v_add_u32_e32 v16, v34, v33                                // 0000000045A8: 68204322
	v_lshlrev_b32_e32 v16, 2, v16                              // 0000000045AC: 24202082
	s_mul_i32 s60, s47, 0x880                                  // 0000000045B0: 923CFF2F 00000880
	v_add_u32_e32 v28, s60, v16                                // 0000000045B8: 6838203C
	v_lshrrev_b32_e32 v32, 5, v0                               // 0000000045BC: 20400085
	v_mul_i32_i24_e32 v19, 0x80, v32                           // 0000000045C0: 0C2640FF 00000080
	v_and_b32_e32 v32, 31, v0                                  // 0000000045C8: 2640009F
	v_and_b32_e32 v33, 7, v32                                  // 0000000045CC: 26424087
	v_and_b32_e32 v34, 1, v33                                  // 0000000045D0: 26444281
	v_lshlrev_b32_e32 v34, 2, v34                              // 0000000045D4: 24444482
	v_add_u32_e32 v19, v34, v19                                // 0000000045D8: 68262722
	v_and_b32_e32 v34, 2, v33                                  // 0000000045DC: 26444282
	v_lshlrev_b32_e32 v34, 3, v34                              // 0000000045E0: 24444483
	v_add_u32_e32 v19, v34, v19                                // 0000000045E4: 68262722
	v_and_b32_e32 v34, 4, v33                                  // 0000000045E8: 26444284
	v_lshlrev_b32_e32 v34, 1, v34                              // 0000000045EC: 24444481
	v_add_u32_e32 v19, v34, v19                                // 0000000045F0: 68262722
	v_lshrrev_b32_e32 v33, 3, v32                              // 0000000045F4: 20424083
	v_and_b32_e32 v34, 1, v33                                  // 0000000045F8: 26444281
	v_lshlrev_b32_e32 v34, 1, v34                              // 0000000045FC: 24444481
	v_add_u32_e32 v19, v34, v19                                // 000000004600: 68262722
	v_and_b32_e32 v34, 2, v33                                  // 000000004604: 26444282
	v_lshrrev_b32_e32 v34, 1, v34                              // 000000004608: 20444481
	v_add_u32_e32 v19, v34, v19                                // 00000000460C: 68262722
	s_mul_i32 s60, s47, 32                                     // 000000004610: 923CA02F
	v_add_u32_e32 v19, s60, v19                                // 000000004614: 6826263C
	v_lshlrev_b32_e32 v19, 2, v19                              // 000000004618: 24262682
	v_and_b32_e32 v32, 15, v0                                  // 00000000461C: 2640008F
	v_and_b32_e32 v34, 1, v32                                  // 000000004620: 26444081
	v_mul_i32_i24_e32 v18, 0x108, v34                          // 000000004624: 0C2444FF 00000108
	v_and_b32_e32 v34, 2, v32                                  // 00000000462C: 26444082
	v_lshlrev_b32_e32 v34, 1, v34                              // 000000004630: 24444481
	v_add_u32_e32 v18, v34, v18                                // 000000004634: 68242522
	v_and_b32_e32 v34, 4, v32                                  // 000000004638: 26444084
	v_lshlrev_b32_e32 v34, 2, v34                              // 00000000463C: 24444482
	v_add_u32_e32 v18, v34, v18                                // 000000004640: 68242522
	v_and_b32_e32 v34, 8, v32                                  // 000000004644: 26444088
	v_add_u32_e32 v18, v34, v18                                // 000000004648: 68242522
	v_lshrrev_b32_e32 v32, 4, v0                               // 00000000464C: 20400084
	v_and_b32_e32 v34, 1, v32                                  // 000000004650: 26444081
	v_lshlrev_b32_e32 v34, 5, v34                              // 000000004654: 24444485
	v_add_u32_e32 v18, v34, v18                                // 000000004658: 68242522
	v_and_b32_e32 v33, 2, v32                                  // 00000000465C: 26424082
	v_mul_i32_i24_e32 v34, 32, v33                             // 000000004660: 0C4442A0
	v_mul_i32_i24_e32 v33, 0x110, v33                          // 000000004664: 0C4242FF 00000110
	v_add_u32_e32 v29, v33, v18                                // 00000000466C: 683A2521
	v_add_u32_e32 v18, v34, v18                                // 000000004670: 68242522
	v_lshlrev_b32_e32 v18, 2, v18                              // 000000004674: 24242482
	v_lshlrev_b32_e32 v29, 2, v29                              // 000000004678: 243A3A82
	s_and_b32 s60, 1, s47                                      // 00000000467C: 863C2F81
	s_mul_i32 s60, s60, 0x200                                  // 000000004680: 923CFF3C 00000200
	v_add_u32_e32 v29, s60, v29                                // 000000004688: 683A3A3C
	v_lshrrev_b32_e32 v32, 4, v0                               // 00000000468C: 20400084
	v_mul_i32_i24_e32 v27, 4, v32                              // 000000004690: 0C364084
	v_and_b32_e32 v33, 3, v0                                   // 000000004694: 26420083
	v_add_u32_e32 v27, v33, v27                                // 000000004698: 68363721
	v_lshlrev_b32_e32 v27, 2, v27                              // 00000000469C: 24363682
	v_lshrrev_b32_e32 v32, 5, v0                               // 0000000046A0: 20400085
	v_mul_i32_i24_e32 v25, 2, v32                              // 0000000046A4: 0C324082
	v_and_b32_e32 v32, 31, v0                                  // 0000000046A8: 2640009F
	v_lshrrev_b32_e32 v32, 1, v32                              // 0000000046AC: 20404081
	v_mul_i32_i24_e32 v33, 34, v32                             // 0000000046B0: 0C4240A2
	v_add_u32_e32 v25, v33, v25                                // 0000000046B4: 68323321
	v_and_b32_e32 v33, 1, v0                                   // 0000000046B8: 26420081
	v_add_u32_e32 v25, v33, v25                                // 0000000046BC: 68323321
	s_and_b32 s60, 1, s47                                      // 0000000046C0: 863C2F81
	s_mul_i32 s60, s60, 16                                     // 0000000046C4: 923C903C
	s_lshr_b32 s61, s47, 1                                     // 0000000046C8: 8F3D812F
	s_mul_i32 s61, s61, 0x220                                  // 0000000046CC: 923DFF3D 00000220
	s_add_u32 s60, s60, s61                                    // 0000000046D4: 803C3D3C
	v_add_u32_e32 v25, s60, v25                                // 0000000046D8: 6832323C
	v_lshlrev_b32_e32 v25, 2, v25                              // 0000000046DC: 24323282
	v_lshrrev_b32_e32 v32, 4, v0                               // 0000000046E0: 20400084
	v_mul_i32_i24_e32 v26, 34, v32                             // 0000000046E4: 0C3440A2
	v_and_b32_e32 v32, 15, v0                                  // 0000000046E8: 2640008F
	v_mul_i32_i24_e32 v33, 2, v32                              // 0000000046EC: 0C424082
	v_add_u32_e32 v26, v33, v26                                // 0000000046F0: 68343521
	s_mul_i32 s60, s47, 0x110                                  // 0000000046F4: 923CFF2F 00000110
	v_add_u32_e32 v26, s60, v26                                // 0000000046FC: 6834343C
	v_lshlrev_b32_e32 v26, 2, v26                              // 000000004700: 24343482
	v_lshrrev_b32_e32 v32, 5, v0                               // 000000004704: 20400085
	v_mul_i32_i24_e32 v23, 64, v32                             // 000000004708: 0C2E40C0
	v_and_b32_e32 v32, 31, v0                                  // 00000000470C: 2640009F
	v_and_b32_e32 v32, 3, v32                                  // 000000004710: 26404083
	v_and_b32_e32 v33, 1, v32                                  // 000000004714: 26424081
	v_mul_i32_i24_e32 v33, 4, v33                              // 000000004718: 0C424284
	v_add_u32_e32 v23, v33, v23                                // 00000000471C: 682E2F21
	v_and_b32_e32 v33, 2, v32                                  // 000000004720: 26424082
	v_mul_i32_i24_e32 v33, 0x44, v33                           // 000000004724: 0C4242FF 00000044
	v_add_u32_e32 v23, v33, v23                                // 00000000472C: 682E2F21
	v_and_b32_e32 v32, 31, v0                                  // 000000004730: 2640009F
	v_lshrrev_b32_e32 v32, 2, v32                              // 000000004734: 20404082
	v_lshrrev_b32_e32 v34, 2, v32                              // 000000004738: 20444082
	v_mul_i32_i24_e32 v33, 16, v34                             // 00000000473C: 0C424490
	v_add_u32_e32 v23, v33, v23                                // 000000004740: 682E2F21
	v_and_b32_e32 v33, 2, v32                                  // 000000004744: 26424082
	v_lshlrev_b32_e32 v33, 4, v33                              // 000000004748: 24424284
	v_add_u32_e32 v23, v33, v23                                // 00000000474C: 682E2F21
	v_and_b32_e32 v33, 1, v32                                  // 000000004750: 26424081
	v_xor_b32_e32 v33, v34, v33                                // 000000004754: 2A424322
	v_mul_i32_i24_e32 v33, 8, v33                              // 000000004758: 0C424288
	v_add_u32_e32 v23, v33, v23                                // 00000000475C: 682E2F21
	s_lshr_b32 s60, s47, 1                                     // 000000004760: 8F3C812F
	s_mul_i32 s60, s60, 0x6c0                                  // 000000004764: 923CFF3C 000006C0
	v_add_u32_e32 v23, s60, v23                                // 00000000476C: 682E2E3C
	v_lshlrev_b32_e32 v23, 2, v23                              // 000000004770: 242E2E82
	v_lshrrev_b32_e32 v32, 5, v0                               // 000000004774: 20400085
	v_mul_i32_i24_e32 v24, 32, v32                             // 000000004778: 0C3040A0
	v_and_b32_e32 v32, 31, v0                                  // 00000000477C: 2640009F
	v_and_b32_e32 v32, 3, v32                                  // 000000004780: 26404083
	v_and_b32_e32 v33, 1, v32                                  // 000000004784: 26424081
	v_mul_i32_i24_e32 v33, 4, v33                              // 000000004788: 0C424284
	v_add_u32_e32 v24, v33, v24                                // 00000000478C: 68303121
	v_and_b32_e32 v33, 2, v32                                  // 000000004790: 26424082
	v_lshrrev_b32_e32 v33, 1, v33                              // 000000004794: 20424281
	v_add_u32_e32 v24, v33, v24                                // 000000004798: 68303121
	v_and_b32_e32 v32, 31, v0                                  // 00000000479C: 2640009F
	v_lshrrev_b32_e32 v32, 2, v32                              // 0000000047A0: 20404082
	v_and_b32_e32 v34, 1, v32                                  // 0000000047A4: 26444081
	v_mul_i32_i24_e32 v33, 16, v34                             // 0000000047A8: 0C424490
	v_add_u32_e32 v24, v33, v24                                // 0000000047AC: 68303121
	v_and_b32_e32 v33, 2, v32                                  // 0000000047B0: 26424082
	v_add_u32_e32 v24, v33, v24                                // 0000000047B4: 68303121
	v_lshrrev_b32_e32 v33, 2, v32                              // 0000000047B8: 20424082
	v_xor_b32_e32 v33, v34, v33                                // 0000000047BC: 2A424322
	v_mul_i32_i24_e32 v33, 8, v33                              // 0000000047C0: 0C424288
	v_add_u32_e32 v24, v33, v24                                // 0000000047C4: 68303121
	s_and_b32 s60, 1, s47                                      // 0000000047C8: 863C2F81
	s_mul_i32 s60, s60, 64                                     // 0000000047CC: 923CC03C
	s_lshr_b32 s61, s47, 1                                     // 0000000047D0: 8F3D812F
	s_mul_i32 s61, s61, 0x120                                  // 0000000047D4: 923DFF3D 00000120
	s_add_u32 s60, s60, s61                                    // 0000000047DC: 803C3D3C
	v_add_u32_e32 v24, s60, v24                                // 0000000047E0: 6830303C
	v_lshlrev_b32_e32 v24, 2, v24                              // 0000000047E4: 24303082
	buffer_load_dword v178, v1, s[12:15], 0 idxen              // 0000000047E8: E0502000 8003B201
	buffer_load_dword v179, v2, s[12:15], 0 idxen              // 0000000047F0: E0502000 8003B302
	s_mul_i32 s60, 16, s7                                      // 0000000047F8: 923C0790
	s_cmp_lt_i32 0, s73                                        // 0000000047FC: BF044980
	s_cselect_b32 s60, s60, 0                                  // 000000004800: 853C803C
	s_add_u32 s12, s60, s12                                    // 000000004804: 800C0C3C
	s_addc_u32 s13, 0, s13                                     // 000000004808: 820D0D80
	buffer_load_dword v180, v1, s[12:15], 0 idxen              // 00000000480C: E0502000 8003B401
	buffer_load_dword v181, v2, s[12:15], 0 idxen              // 000000004814: E0502000 8003B502
	s_mul_i32 s60, 16, s7                                      // 00000000481C: 923C0790
	s_cmp_lt_i32 0, s73                                        // 000000004820: BF044980
	s_cselect_b32 s60, s60, 0                                  // 000000004824: 853C803C
	s_add_u32 s12, s60, s12                                    // 000000004828: 800C0C3C
	s_addc_u32 s13, 0, s13                                     // 00000000482C: 820D0D80
	buffer_load_dword v182, v1, s[12:15], 0 idxen              // 000000004830: E0502000 8003B601
	buffer_load_dword v183, v2, s[12:15], 0 idxen              // 000000004838: E0502000 8003B702
	s_mul_i32 s60, 16, s7                                      // 000000004840: 923C0790
	s_cmp_lt_i32 0, s73                                        // 000000004844: BF044980
	s_cselect_b32 s60, s60, 0                                  // 000000004848: 853C803C
	s_add_u32 s12, s60, s12                                    // 00000000484C: 800C0C3C
	s_addc_u32 s13, 0, s13                                     // 000000004850: 820D0D80
	buffer_load_dword v184, v1, s[12:15], 0 idxen              // 000000004854: E0502000 8003B801
	buffer_load_dword v185, v2, s[12:15], 0 idxen              // 00000000485C: E0502000 8003B902
	s_mul_i32 s60, 16, s7                                      // 000000004864: 923C0790
	s_cmp_lt_i32 1, s73                                        // 000000004868: BF044981
	s_cselect_b32 s60, s60, 0                                  // 00000000486C: 853C803C
	s_add_u32 s12, s60, s12                                    // 000000004870: 800C0C3C
	s_addc_u32 s13, 0, s13                                     // 000000004874: 820D0D80
	buffer_load_dword v186, v1, s[12:15], 0 idxen              // 000000004878: E0502000 8003BA01
	buffer_load_dword v187, v2, s[12:15], 0 idxen              // 000000004880: E0502000 8003BB02
	s_mul_i32 s60, 16, s7                                      // 000000004888: 923C0790
	s_cmp_lt_i32 1, s73                                        // 00000000488C: BF044981
	s_cselect_b32 s60, s60, 0                                  // 000000004890: 853C803C
	s_add_u32 s12, s60, s12                                    // 000000004894: 800C0C3C
	s_addc_u32 s13, 0, s13                                     // 000000004898: 820D0D80
	buffer_load_dword v188, v1, s[12:15], 0 idxen              // 00000000489C: E0502000 8003BC01
	buffer_load_dword v189, v2, s[12:15], 0 idxen              // 0000000048A4: E0502000 8003BD02
	s_mul_i32 s60, 16, s7                                      // 0000000048AC: 923C0790
	s_cmp_lt_i32 1, s73                                        // 0000000048B0: BF044981
	s_cselect_b32 s60, s60, 0                                  // 0000000048B4: 853C803C
	s_add_u32 s12, s60, s12                                    // 0000000048B8: 800C0C3C
	s_addc_u32 s13, 0, s13                                     // 0000000048BC: 820D0D80
	buffer_load_dword v190, v1, s[12:15], 0 idxen              // 0000000048C0: E0502000 8003BE01
	buffer_load_dword v191, v2, s[12:15], 0 idxen              // 0000000048C8: E0502000 8003BF02
	s_mul_i32 s60, 16, s7                                      // 0000000048D0: 923C0790
	s_cmp_lt_i32 1, s73                                        // 0000000048D4: BF044981
	s_cselect_b32 s60, s60, 0                                  // 0000000048D8: 853C803C
	s_add_u32 s12, s60, s12                                    // 0000000048DC: 800C0C3C
	s_addc_u32 s13, 0, s13                                     // 0000000048E0: 820D0D80
	buffer_load_dword v192, v1, s[12:15], 0 idxen              // 0000000048E4: E0502000 8003C001
	buffer_load_dword v193, v2, s[12:15], 0 idxen              // 0000000048EC: E0502000 8003C102
	s_mul_i32 s60, 16, s7                                      // 0000000048F4: 923C0790
	s_cmp_lt_i32 2, s73                                        // 0000000048F8: BF044982
	s_cselect_b32 s60, s60, 0                                  // 0000000048FC: 853C803C
	s_add_u32 s12, s60, s12                                    // 000000004900: 800C0C3C
	s_addc_u32 s13, 0, s13                                     // 000000004904: 820D0D80
	buffer_load_dword v194, v1, s[12:15], 0 idxen              // 000000004908: E0502000 8003C201
	buffer_load_dword v195, v2, s[12:15], 0 idxen              // 000000004910: E0502000 8003C302
	s_mul_i32 s60, 16, s7                                      // 000000004918: 923C0790
	s_cmp_lt_i32 2, s73                                        // 00000000491C: BF044982
	s_cselect_b32 s60, s60, 0                                  // 000000004920: 853C803C
	s_add_u32 s12, s60, s12                                    // 000000004924: 800C0C3C
	s_addc_u32 s13, 0, s13                                     // 000000004928: 820D0D80
	buffer_load_dword v196, v1, s[12:15], 0 idxen              // 00000000492C: E0502000 8003C401
	buffer_load_dword v197, v2, s[12:15], 0 idxen              // 000000004934: E0502000 8003C502
	s_mul_i32 s60, 16, s7                                      // 00000000493C: 923C0790
	s_cmp_lt_i32 2, s73                                        // 000000004940: BF044982
	s_cselect_b32 s60, s60, 0                                  // 000000004944: 853C803C
	s_add_u32 s12, s60, s12                                    // 000000004948: 800C0C3C
	s_addc_u32 s13, 0, s13                                     // 00000000494C: 820D0D80
	buffer_load_dword v198, v1, s[12:15], 0 idxen              // 000000004950: E0502000 8003C601
	buffer_load_dword v199, v2, s[12:15], 0 idxen              // 000000004958: E0502000 8003C702
	s_mul_i32 s60, 16, s7                                      // 000000004960: 923C0790
	s_cmp_lt_i32 2, s73                                        // 000000004964: BF044982
	s_cselect_b32 s60, s60, 0                                  // 000000004968: 853C803C
	s_add_u32 s12, s60, s12                                    // 00000000496C: 800C0C3C
	s_addc_u32 s13, 0, s13                                     // 000000004970: 820D0D80
	buffer_load_dword v200, v1, s[12:15], 0 idxen              // 000000004974: E0502000 8003C801
	buffer_load_dword v201, v2, s[12:15], 0 idxen              // 00000000497C: E0502000 8003C902
	s_mul_i32 s60, 16, s7                                      // 000000004984: 923C0790
	s_cmp_lt_i32 3, s73                                        // 000000004988: BF044983
	s_cselect_b32 s60, s60, 0                                  // 00000000498C: 853C803C
	s_add_u32 s12, s60, s12                                    // 000000004990: 800C0C3C
	s_addc_u32 s13, 0, s13                                     // 000000004994: 820D0D80
	s_waitcnt vmcnt(16) lgkmcnt(0)                             // 000000004998: BF8C4070
	s_barrier                                                  // 00000000499C: BF8A0000
	s_cmp_lt_i32 0, s73                                        // 0000000049A0: BF044980
	s_cbranch_scc1 label_0272                                  // 0000000049A4: BF850008
	v_mov_b32_e32 v178, 0                                      // 0000000049A8: 7F640280
	v_mov_b32_e32 v179, 0                                      // 0000000049AC: 7F660280
	v_mov_b32_e32 v180, 0                                      // 0000000049B0: 7F680280
	v_mov_b32_e32 v181, 0                                      // 0000000049B4: 7F6A0280
	v_mov_b32_e32 v182, 0                                      // 0000000049B8: 7F6C0280
	v_mov_b32_e32 v183, 0                                      // 0000000049BC: 7F6E0280
	v_mov_b32_e32 v184, 0                                      // 0000000049C0: 7F700280
	v_mov_b32_e32 v185, 0                                      // 0000000049C4: 7F720280

00000000000049c8 <label_0272>:
	v_perm_b32 v202, v179, v178, s63                           // 0000000049C8: D1ED00CA 00FF65B3
	v_perm_b32 v203, v179, v178, s64                           // 0000000049D0: D1ED00CB 010365B3
	v_perm_b32 v204, v181, v180, s63                           // 0000000049D8: D1ED00CC 00FF69B5
	v_perm_b32 v205, v181, v180, s64                           // 0000000049E0: D1ED00CD 010369B5
	v_perm_b32 v206, v183, v182, s63                           // 0000000049E8: D1ED00CE 00FF6DB7
	v_perm_b32 v207, v183, v182, s64                           // 0000000049F0: D1ED00CF 01036DB7
	v_perm_b32 v208, v185, v184, s63                           // 0000000049F8: D1ED00D0 00FF71B9
	v_perm_b32 v209, v185, v184, s64                           // 000000004A00: D1ED00D1 010371B9
	ds_write_b32 v19, v202 offset:8704                         // 000000004A08: D81A2200 0000CA13
	ds_write_b32 v19, v203 offset:9760                         // 000000004A10: D81A2620 0000CB13
	ds_write_b32 v19, v204 offset:10880                        // 000000004A18: D81A2A80 0000CC13
	ds_write_b32 v19, v205 offset:11936                        // 000000004A20: D81A2EA0 0000CD13
	ds_write_b32 v19, v206 offset:13056                        // 000000004A28: D81A3300 0000CE13
	ds_write_b32 v19, v207 offset:14112                        // 000000004A30: D81A3720 0000CF13
	ds_write_b32 v19, v208 offset:15232                        // 000000004A38: D81A3B80 0000D013
	ds_write_b32 v19, v209 offset:16288                        // 000000004A40: D81A3FA0 0000D113
	ds_write_b32 v17, v178                                     // 000000004A48: D81A0000 0000B211
	ds_write_b32 v17, v179 offset:1056                         // 000000004A50: D81A0420 0000B311
	ds_write_b32 v17, v180 offset:2176                         // 000000004A58: D81A0880 0000B411
	ds_write_b32 v17, v181 offset:3232                         // 000000004A60: D81A0CA0 0000B511
	ds_write_b32 v17, v182 offset:4352                         // 000000004A68: D81A1100 0000B611
	ds_write_b32 v17, v183 offset:5408                         // 000000004A70: D81A1520 0000B711
	ds_write_b32 v17, v184 offset:6528                         // 000000004A78: D81A1980 0000B811
	ds_write_b32 v17, v185 offset:7584                         // 000000004A80: D81A1DA0 0000B911
	buffer_load_dword v178, v1, s[16:19], 0 idxen              // 000000004A88: E0502000 8004B201
	buffer_load_dword v179, v2, s[16:19], 0 idxen              // 000000004A90: E0502000 8004B302
	s_mul_i32 s60, 16, s7                                      // 000000004A98: 923C0790
	s_cmp_lt_i32 0, s73                                        // 000000004A9C: BF044980
	s_cselect_b32 s60, s60, 0                                  // 000000004AA0: 853C803C
	s_add_u32 s16, s60, s16                                    // 000000004AA4: 8010103C
	s_addc_u32 s17, 0, s17                                     // 000000004AA8: 82111180
	buffer_load_dword v180, v1, s[16:19], 0 idxen              // 000000004AAC: E0502000 8004B401
	buffer_load_dword v181, v2, s[16:19], 0 idxen              // 000000004AB4: E0502000 8004B502
	s_mul_i32 s60, 16, s7                                      // 000000004ABC: 923C0790
	s_cmp_lt_i32 0, s73                                        // 000000004AC0: BF044980
	s_cselect_b32 s60, s60, 0                                  // 000000004AC4: 853C803C
	s_add_u32 s16, s60, s16                                    // 000000004AC8: 8010103C
	s_addc_u32 s17, 0, s17                                     // 000000004ACC: 82111180
	buffer_load_dword v182, v1, s[16:19], 0 idxen              // 000000004AD0: E0502000 8004B601
	buffer_load_dword v183, v2, s[16:19], 0 idxen              // 000000004AD8: E0502000 8004B702
	s_mul_i32 s60, 16, s7                                      // 000000004AE0: 923C0790
	s_cmp_lt_i32 0, s73                                        // 000000004AE4: BF044980
	s_cselect_b32 s60, s60, 0                                  // 000000004AE8: 853C803C
	s_add_u32 s16, s60, s16                                    // 000000004AEC: 8010103C
	s_addc_u32 s17, 0, s17                                     // 000000004AF0: 82111180
	buffer_load_dword v184, v1, s[16:19], 0 idxen              // 000000004AF4: E0502000 8004B801
	buffer_load_dword v185, v2, s[16:19], 0 idxen              // 000000004AFC: E0502000 8004B902
	s_mul_i32 s60, 16, s7                                      // 000000004B04: 923C0790
	s_cmp_lt_i32 1, s73                                        // 000000004B08: BF044981
	s_cselect_b32 s60, s60, 0                                  // 000000004B0C: 853C803C
	s_add_u32 s16, s60, s16                                    // 000000004B10: 8010103C
	s_addc_u32 s17, 0, s17                                     // 000000004B14: 82111180
	s_waitcnt lgkmcnt(0)                                       // 000000004B18: BF8CC07F
	s_barrier                                                  // 000000004B1C: BF8A0000
	ds_read_b128 a[24:27], v29 offset:8704                     // 000000004B20: DBFE2200 1800001D
	ds_read_b128 a[28:31], v29 offset:8960                     // 000000004B28: DBFE2300 1C00001D
	ds_read_b128 a[32:35], v29 offset:13056                    // 000000004B30: DBFE3300 2000001D
	ds_read_b128 a[36:39], v29 offset:13312                    // 000000004B38: DBFE3400 2400001D
	ds_read_b128 a[0:3], v28                                   // 000000004B40: DBFE0000 0000001C
	ds_read_b128 a[4:7], v28 offset:512                        // 000000004B48: DBFE0200 0400001C
	s_waitcnt vmcnt(16) lgkmcnt(0)                             // 000000004B50: BF8C4070
	s_barrier                                                  // 000000004B54: BF8A0000
	s_cmp_lt_i32 1, s73                                        // 000000004B58: BF044981
	s_cbranch_scc1 label_02E0                                  // 000000004B5C: BF850008
	v_mov_b32_e32 v186, 0                                      // 000000004B60: 7F740280
	v_mov_b32_e32 v187, 0                                      // 000000004B64: 7F760280
	v_mov_b32_e32 v188, 0                                      // 000000004B68: 7F780280
	v_mov_b32_e32 v189, 0                                      // 000000004B6C: 7F7A0280
	v_mov_b32_e32 v190, 0                                      // 000000004B70: 7F7C0280
	v_mov_b32_e32 v191, 0                                      // 000000004B74: 7F7E0280
	v_mov_b32_e32 v192, 0                                      // 000000004B78: 7F800280
	v_mov_b32_e32 v193, 0                                      // 000000004B7C: 7F820280

0000000000004b80 <label_02E0>:
	v_perm_b32 v202, v187, v186, s63                           // 000000004B80: D1ED00CA 00FF75BB
	v_perm_b32 v203, v187, v186, s64                           // 000000004B88: D1ED00CB 010375BB
	v_perm_b32 v204, v189, v188, s63                           // 000000004B90: D1ED00CC 00FF79BD
	v_perm_b32 v205, v189, v188, s64                           // 000000004B98: D1ED00CD 010379BD
	v_perm_b32 v206, v191, v190, s63                           // 000000004BA0: D1ED00CE 00FF7DBF
	v_perm_b32 v207, v191, v190, s64                           // 000000004BA8: D1ED00CF 01037DBF
	v_perm_b32 v208, v193, v192, s63                           // 000000004BB0: D1ED00D0 00FF81C1
	v_perm_b32 v209, v193, v192, s64                           // 000000004BB8: D1ED00D1 010381C1
	ds_write_b32 v19, v202 offset:8704                         // 000000004BC0: D81A2200 0000CA13
	ds_write_b32 v19, v203 offset:9760                         // 000000004BC8: D81A2620 0000CB13
	ds_write_b32 v19, v204 offset:10880                        // 000000004BD0: D81A2A80 0000CC13
	ds_write_b32 v19, v205 offset:11936                        // 000000004BD8: D81A2EA0 0000CD13
	ds_write_b32 v19, v206 offset:13056                        // 000000004BE0: D81A3300 0000CE13
	ds_write_b32 v19, v207 offset:14112                        // 000000004BE8: D81A3720 0000CF13
	ds_write_b32 v19, v208 offset:15232                        // 000000004BF0: D81A3B80 0000D013
	ds_write_b32 v19, v209 offset:16288                        // 000000004BF8: D81A3FA0 0000D113
	ds_write_b32 v17, v186                                     // 000000004C00: D81A0000 0000BA11
	ds_write_b32 v17, v187 offset:1056                         // 000000004C08: D81A0420 0000BB11
	ds_write_b32 v17, v188 offset:2176                         // 000000004C10: D81A0880 0000BC11
	ds_write_b32 v17, v189 offset:3232                         // 000000004C18: D81A0CA0 0000BD11
	ds_write_b32 v17, v190 offset:4352                         // 000000004C20: D81A1100 0000BE11
	ds_write_b32 v17, v191 offset:5408                         // 000000004C28: D81A1520 0000BF11
	ds_write_b32 v17, v192 offset:6528                         // 000000004C30: D81A1980 0000C011
	ds_write_b32 v17, v193 offset:7584                         // 000000004C38: D81A1DA0 0000C111
	buffer_load_dword v186, v1, s[16:19], 0 idxen              // 000000004C40: E0502000 8004BA01
	buffer_load_dword v187, v2, s[16:19], 0 idxen              // 000000004C48: E0502000 8004BB02
	s_mul_i32 s60, 16, s7                                      // 000000004C50: 923C0790
	s_cmp_lt_i32 1, s73                                        // 000000004C54: BF044981
	s_cselect_b32 s60, s60, 0                                  // 000000004C58: 853C803C
	s_add_u32 s16, s60, s16                                    // 000000004C5C: 8010103C
	s_addc_u32 s17, 0, s17                                     // 000000004C60: 82111180
	buffer_load_dword v188, v1, s[16:19], 0 idxen              // 000000004C64: E0502000 8004BC01
	buffer_load_dword v189, v2, s[16:19], 0 idxen              // 000000004C6C: E0502000 8004BD02
	s_mul_i32 s60, 16, s7                                      // 000000004C74: 923C0790
	s_cmp_lt_i32 1, s73                                        // 000000004C78: BF044981
	s_cselect_b32 s60, s60, 0                                  // 000000004C7C: 853C803C
	s_add_u32 s16, s60, s16                                    // 000000004C80: 8010103C
	s_addc_u32 s17, 0, s17                                     // 000000004C84: 82111180
	buffer_load_dword v190, v1, s[16:19], 0 idxen              // 000000004C88: E0502000 8004BE01
	buffer_load_dword v191, v2, s[16:19], 0 idxen              // 000000004C90: E0502000 8004BF02
	s_mul_i32 s60, 16, s7                                      // 000000004C98: 923C0790
	s_cmp_lt_i32 1, s73                                        // 000000004C9C: BF044981
	s_cselect_b32 s60, s60, 0                                  // 000000004CA0: 853C803C
	s_add_u32 s16, s60, s16                                    // 000000004CA4: 8010103C
	s_addc_u32 s17, 0, s17                                     // 000000004CA8: 82111180
	buffer_load_dword v192, v1, s[16:19], 0 idxen              // 000000004CAC: E0502000 8004C001
	buffer_load_dword v193, v2, s[16:19], 0 idxen              // 000000004CB4: E0502000 8004C102
	s_mul_i32 s60, 16, s7                                      // 000000004CBC: 923C0790
	s_cmp_lt_i32 2, s73                                        // 000000004CC0: BF044982
	s_cselect_b32 s60, s60, 0                                  // 000000004CC4: 853C803C
	s_add_u32 s16, s60, s16                                    // 000000004CC8: 8010103C
	s_addc_u32 s17, 0, s17                                     // 000000004CCC: 82111180
	s_waitcnt lgkmcnt(0)                                       // 000000004CD0: BF8CC07F
	s_barrier                                                  // 000000004CD4: BF8A0000
	ds_read_b128 a[40:43], v29 offset:8704                     // 000000004CD8: DBFE2200 2800001D
	ds_read_b128 a[44:47], v29 offset:8960                     // 000000004CE0: DBFE2300 2C00001D
	ds_read_b128 a[48:51], v29 offset:13056                    // 000000004CE8: DBFE3300 3000001D
	ds_read_b128 a[52:55], v29 offset:13312                    // 000000004CF0: DBFE3400 3400001D
	ds_read_b128 a[8:11], v28                                  // 000000004CF8: DBFE0000 0800001C
	ds_read_b128 a[12:15], v28 offset:512                      // 000000004D00: DBFE0200 0C00001C
	s_waitcnt vmcnt(16) lgkmcnt(0)                             // 000000004D08: BF8C4070
	s_barrier                                                  // 000000004D0C: BF8A0000
	s_cmp_lt_i32 2, s73                                        // 000000004D10: BF044982
	s_cbranch_scc1 label_034E                                  // 000000004D14: BF850008
	v_mov_b32_e32 v194, 0                                      // 000000004D18: 7F840280
	v_mov_b32_e32 v195, 0                                      // 000000004D1C: 7F860280
	v_mov_b32_e32 v196, 0                                      // 000000004D20: 7F880280
	v_mov_b32_e32 v197, 0                                      // 000000004D24: 7F8A0280
	v_mov_b32_e32 v198, 0                                      // 000000004D28: 7F8C0280
	v_mov_b32_e32 v199, 0                                      // 000000004D2C: 7F8E0280
	v_mov_b32_e32 v200, 0                                      // 000000004D30: 7F900280
	v_mov_b32_e32 v201, 0                                      // 000000004D34: 7F920280

0000000000004d38 <label_034E>:
	v_perm_b32 v202, v195, v194, s63                           // 000000004D38: D1ED00CA 00FF85C3
	v_perm_b32 v203, v195, v194, s64                           // 000000004D40: D1ED00CB 010385C3
	v_perm_b32 v204, v197, v196, s63                           // 000000004D48: D1ED00CC 00FF89C5
	v_perm_b32 v205, v197, v196, s64                           // 000000004D50: D1ED00CD 010389C5
	v_perm_b32 v206, v199, v198, s63                           // 000000004D58: D1ED00CE 00FF8DC7
	v_perm_b32 v207, v199, v198, s64                           // 000000004D60: D1ED00CF 01038DC7
	v_perm_b32 v208, v201, v200, s63                           // 000000004D68: D1ED00D0 00FF91C9
	v_perm_b32 v209, v201, v200, s64                           // 000000004D70: D1ED00D1 010391C9
	ds_write_b32 v19, v202 offset:8704                         // 000000004D78: D81A2200 0000CA13
	ds_write_b32 v19, v203 offset:9760                         // 000000004D80: D81A2620 0000CB13
	ds_write_b32 v19, v204 offset:10880                        // 000000004D88: D81A2A80 0000CC13
	ds_write_b32 v19, v205 offset:11936                        // 000000004D90: D81A2EA0 0000CD13
	ds_write_b32 v19, v206 offset:13056                        // 000000004D98: D81A3300 0000CE13
	ds_write_b32 v19, v207 offset:14112                        // 000000004DA0: D81A3720 0000CF13
	ds_write_b32 v19, v208 offset:15232                        // 000000004DA8: D81A3B80 0000D013
	ds_write_b32 v19, v209 offset:16288                        // 000000004DB0: D81A3FA0 0000D113
	ds_write_b32 v17, v194                                     // 000000004DB8: D81A0000 0000C211
	ds_write_b32 v17, v195 offset:1056                         // 000000004DC0: D81A0420 0000C311
	ds_write_b32 v17, v196 offset:2176                         // 000000004DC8: D81A0880 0000C411
	ds_write_b32 v17, v197 offset:3232                         // 000000004DD0: D81A0CA0 0000C511
	ds_write_b32 v17, v198 offset:4352                         // 000000004DD8: D81A1100 0000C611
	ds_write_b32 v17, v199 offset:5408                         // 000000004DE0: D81A1520 0000C711
	ds_write_b32 v17, v200 offset:6528                         // 000000004DE8: D81A1980 0000C811
	ds_write_b32 v17, v201 offset:7584                         // 000000004DF0: D81A1DA0 0000C911
	buffer_load_dword v194, v1, s[16:19], 0 idxen              // 000000004DF8: E0502000 8004C201
	buffer_load_dword v195, v2, s[16:19], 0 idxen              // 000000004E00: E0502000 8004C302
	s_mul_i32 s60, 16, s7                                      // 000000004E08: 923C0790
	s_cmp_lt_i32 2, s73                                        // 000000004E0C: BF044982
	s_cselect_b32 s60, s60, 0                                  // 000000004E10: 853C803C
	s_add_u32 s16, s60, s16                                    // 000000004E14: 8010103C
	s_addc_u32 s17, 0, s17                                     // 000000004E18: 82111180
	buffer_load_dword v196, v1, s[16:19], 0 idxen              // 000000004E1C: E0502000 8004C401
	buffer_load_dword v197, v2, s[16:19], 0 idxen              // 000000004E24: E0502000 8004C502
	s_mul_i32 s60, 16, s7                                      // 000000004E2C: 923C0790
	s_cmp_lt_i32 2, s73                                        // 000000004E30: BF044982
	s_cselect_b32 s60, s60, 0                                  // 000000004E34: 853C803C
	s_add_u32 s16, s60, s16                                    // 000000004E38: 8010103C
	s_addc_u32 s17, 0, s17                                     // 000000004E3C: 82111180
	buffer_load_dword v198, v1, s[16:19], 0 idxen              // 000000004E40: E0502000 8004C601
	buffer_load_dword v199, v2, s[16:19], 0 idxen              // 000000004E48: E0502000 8004C702
	s_mul_i32 s60, 16, s7                                      // 000000004E50: 923C0790
	s_cmp_lt_i32 2, s73                                        // 000000004E54: BF044982
	s_cselect_b32 s60, s60, 0                                  // 000000004E58: 853C803C
	s_add_u32 s16, s60, s16                                    // 000000004E5C: 8010103C
	s_addc_u32 s17, 0, s17                                     // 000000004E60: 82111180
	buffer_load_dword v200, v1, s[16:19], 0 idxen              // 000000004E64: E0502000 8004C801
	buffer_load_dword v201, v2, s[16:19], 0 idxen              // 000000004E6C: E0502000 8004C902
	s_mul_i32 s60, 16, s7                                      // 000000004E74: 923C0790
	s_cmp_lt_i32 3, s73                                        // 000000004E78: BF044983
	s_cselect_b32 s60, s60, 0                                  // 000000004E7C: 853C803C
	s_add_u32 s16, s60, s16                                    // 000000004E80: 8010103C
	s_addc_u32 s17, 0, s17                                     // 000000004E84: 82111180
	s_waitcnt lgkmcnt(0)                                       // 000000004E88: BF8CC07F
	s_barrier                                                  // 000000004E8C: BF8A0000
	ds_read_b128 a[56:59], v29 offset:8704                     // 000000004E90: DBFE2200 3800001D
	ds_read_b128 a[60:63], v29 offset:8960                     // 000000004E98: DBFE2300 3C00001D
	ds_read_b128 a[64:67], v29 offset:13056                    // 000000004EA0: DBFE3300 4000001D
	ds_read_b128 a[68:71], v29 offset:13312                    // 000000004EA8: DBFE3400 4400001D
	ds_read_b128 a[16:19], v28                                 // 000000004EB0: DBFE0000 1000001C
	ds_read_b128 a[20:23], v28 offset:512                      // 000000004EB8: DBFE0200 1400001C
	s_waitcnt vmcnt(16) lgkmcnt(0)                             // 000000004EC0: BF8C4070
	s_barrier                                                  // 000000004EC4: BF8A0000
	s_cmp_lt_i32 0, s73                                        // 000000004EC8: BF044980
	s_cbranch_scc1 label_03BC                                  // 000000004ECC: BF850008
	v_mov_b32_e32 v178, 0                                      // 000000004ED0: 7F640280
	v_mov_b32_e32 v179, 0                                      // 000000004ED4: 7F660280
	v_mov_b32_e32 v180, 0                                      // 000000004ED8: 7F680280
	v_mov_b32_e32 v181, 0                                      // 000000004EDC: 7F6A0280
	v_mov_b32_e32 v182, 0                                      // 000000004EE0: 7F6C0280
	v_mov_b32_e32 v183, 0                                      // 000000004EE4: 7F6E0280
	v_mov_b32_e32 v184, 0                                      // 000000004EE8: 7F700280
	v_mov_b32_e32 v185, 0                                      // 000000004EEC: 7F720280

0000000000004ef0 <label_03BC>:
	ds_write_b32 v17, v178                                     // 000000004EF0: D81A0000 0000B211
	ds_write_b32 v17, v179 offset:1056                         // 000000004EF8: D81A0420 0000B311
	ds_write_b32 v17, v180 offset:2176                         // 000000004F00: D81A0880 0000B411
	ds_write_b32 v17, v181 offset:3232                         // 000000004F08: D81A0CA0 0000B511
	ds_write_b32 v17, v182 offset:4352                         // 000000004F10: D81A1100 0000B611
	ds_write_b32 v17, v183 offset:5408                         // 000000004F18: D81A1520 0000B711
	ds_write_b32 v17, v184 offset:6528                         // 000000004F20: D81A1980 0000B811
	ds_write_b32 v17, v185 offset:7584                         // 000000004F28: D81A1DA0 0000B911
	s_mov_b32 s71, s70                                         // 000000004F30: BEC70046
	v_lshrrev_b32_e32 v32, 4, v0                               // 000000004F34: 20400084
	v_and_b32_e32 v33, 1, v32                                  // 000000004F38: 26424081
	v_lshlrev_b32_e32 v33, 1, v33                              // 000000004F3C: 24424281
	v_mul_i32_i24_e32 v33, s71, v33                            // 000000004F40: 0C424247
	v_and_b32_e32 v34, 2, v32                                  // 000000004F44: 26444082
	v_lshlrev_b32_e32 v34, 5, v34                              // 000000004F48: 24444485
	v_add_u32_e32 v33, v34, v33                                // 000000004F4C: 68424322
	v_and_b32_e32 v32, 15, v0                                  // 000000004F50: 2640008F
	v_lshlrev_b32_e32 v32, 2, v32                              // 000000004F54: 24404082
	v_add_u32_e32 v1, v32, v33                                 // 000000004F58: 68024320
	s_mul_i32 s60, s47, s71                                    // 000000004F5C: 923C472F
	s_mul_i32 s60, s60, 4                                      // 000000004F60: 923C843C
	v_add_u32_e32 v1, s60, v1                                  // 000000004F64: 6802023C
	v_add_u32_e32 v2, s71, v1                                  // 000000004F68: 68040247
	s_mul_i32 s60, 16, s71                                     // 000000004F6C: 923C4790
	v_add_u32_e32 v3, s60, v1                                  // 000000004F70: 6806023C
	v_add_u32_e32 v4, s60, v2                                  // 000000004F74: 6808043C
	v_lshrrev_b32_e32 v1, 2, v1                                // 000000004F78: 20020282
	v_lshrrev_b32_e32 v2, 2, v2                                // 000000004F7C: 20040482
	v_lshrrev_b32_e32 v3, 2, v3                                // 000000004F80: 20060682
	v_lshrrev_b32_e32 v4, 2, v4                                // 000000004F84: 20080882
	buffer_load_dword v36, v1, s[8:11], 0 idxen                // 000000004F88: E0502000 80022401
	buffer_load_dword v37, v2, s[8:11], 0 idxen                // 000000004F90: E0502000 80022502
	buffer_load_dword v38, v3, s[8:11], 0 idxen                // 000000004F98: E0502000 80022603
	buffer_load_dword v39, v4, s[8:11], 0 idxen                // 000000004FA0: E0502000 80022704
	buffer_load_dword v44, v1, s[20:23], 0 idxen               // 000000004FA8: E0502000 80052C01
	buffer_load_dword v45, v2, s[20:23], 0 idxen               // 000000004FB0: E0502000 80052D02
	buffer_load_dword v46, v3, s[20:23], 0 idxen               // 000000004FB8: E0502000 80052E03
	buffer_load_dword v47, v4, s[20:23], 0 idxen               // 000000004FC0: E0502000 80052F04
	s_waitcnt lgkmcnt(0)                                       // 000000004FC8: BF8CC07F
	s_barrier                                                  // 000000004FCC: BF8A0000
	ds_read_b128 a[72:75], v28                                 // 000000004FD0: DBFE0000 4800001C
	ds_read_b128 a[76:79], v28 offset:512                      // 000000004FD8: DBFE0200 4C00001C
	s_add_u32 s8, s68, s8                                      // 000000004FE0: 80080844
	s_addc_u32 s9, 0, s9                                       // 000000004FE4: 82090980
	s_add_u32 s20, s68, s20                                    // 000000004FE8: 80141444
	s_addc_u32 s21, 0, s21                                     // 000000004FEC: 82151580
	s_waitcnt vmcnt(16) lgkmcnt(0)                             // 000000004FF0: BF8C4070
	s_barrier                                                  // 000000004FF4: BF8A0000
	s_cmp_lt_i32 1, s73                                        // 000000004FF8: BF044981
	s_cbranch_scc1 label_0408                                  // 000000004FFC: BF850008
	v_mov_b32_e32 v186, 0                                      // 000000005000: 7F740280
	v_mov_b32_e32 v187, 0                                      // 000000005004: 7F760280
	v_mov_b32_e32 v188, 0                                      // 000000005008: 7F780280
	v_mov_b32_e32 v189, 0                                      // 00000000500C: 7F7A0280
	v_mov_b32_e32 v190, 0                                      // 000000005010: 7F7C0280
	v_mov_b32_e32 v191, 0                                      // 000000005014: 7F7E0280
	v_mov_b32_e32 v192, 0                                      // 000000005018: 7F800280
	v_mov_b32_e32 v193, 0                                      // 00000000501C: 7F820280

0000000000005020 <label_0408>:
	ds_write_b32 v17, v186                                     // 000000005020: D81A0000 0000BA11
	ds_write_b32 v17, v187 offset:1056                         // 000000005028: D81A0420 0000BB11
	ds_write_b32 v17, v188 offset:2176                         // 000000005030: D81A0880 0000BC11
	ds_write_b32 v17, v189 offset:3232                         // 000000005038: D81A0CA0 0000BD11
	ds_write_b32 v17, v190 offset:4352                         // 000000005040: D81A1100 0000BE11
	ds_write_b32 v17, v191 offset:5408                         // 000000005048: D81A1520 0000BF11
	ds_write_b32 v17, v192 offset:6528                         // 000000005050: D81A1980 0000C011
	ds_write_b32 v17, v193 offset:7584                         // 000000005058: D81A1DA0 0000C111
	buffer_load_dword v40, v1, s[8:11], 0 idxen                // 000000005060: E0502000 80022801
	buffer_load_dword v41, v2, s[8:11], 0 idxen                // 000000005068: E0502000 80022902
	buffer_load_dword v42, v3, s[8:11], 0 idxen                // 000000005070: E0502000 80022A03
	buffer_load_dword v43, v4, s[8:11], 0 idxen                // 000000005078: E0502000 80022B04
	buffer_load_dword v48, v1, s[20:23], 0 idxen               // 000000005080: E0502000 80053001
	buffer_load_dword v49, v2, s[20:23], 0 idxen               // 000000005088: E0502000 80053102
	;; [unrolled: 1-line block ×4, first 2 shown]
	s_waitcnt lgkmcnt(0)                                       // 0000000050A0: BF8CC07F
	s_barrier                                                  // 0000000050A4: BF8A0000
	ds_read_b128 a[80:83], v28                                 // 0000000050A8: DBFE0000 5000001C
	ds_read_b128 a[84:87], v28 offset:512                      // 0000000050B0: DBFE0200 5400001C
	s_add_u32 s60, 64, s59                                     // 0000000050B8: 803C3BC0
	s_cmp_lt_u32 s60, s58                                      // 0000000050BC: BF0A3A3C
	s_cselect_b32 s68, s68, 0                                  // 0000000050C0: 85448044
	s_add_u32 s8, s68, s8                                      // 0000000050C4: 80080844
	s_addc_u32 s9, 0, s9                                       // 0000000050C8: 82090980
	s_add_u32 s20, s68, s20                                    // 0000000050CC: 80141444
	s_addc_u32 s21, 0, s21                                     // 0000000050D0: 82151580
	s_waitcnt vmcnt(16) lgkmcnt(0)                             // 0000000050D4: BF8C4070
	s_barrier                                                  // 0000000050D8: BF8A0000
	s_cmp_lt_i32 2, s73                                        // 0000000050DC: BF044982
	s_cbranch_scc1 label_0441                                  // 0000000050E0: BF850008
	v_mov_b32_e32 v194, 0                                      // 0000000050E4: 7F840280
	v_mov_b32_e32 v195, 0                                      // 0000000050E8: 7F860280
	v_mov_b32_e32 v196, 0                                      // 0000000050EC: 7F880280
	v_mov_b32_e32 v197, 0                                      // 0000000050F0: 7F8A0280
	v_mov_b32_e32 v198, 0                                      // 0000000050F4: 7F8C0280
	v_mov_b32_e32 v199, 0                                      // 0000000050F8: 7F8E0280
	v_mov_b32_e32 v200, 0                                      // 0000000050FC: 7F900280
	v_mov_b32_e32 v201, 0                                      // 000000005100: 7F920280

0000000000005104 <label_0441>:
	ds_write_b32 v17, v194                                     // 000000005104: D81A0000 0000C211
	ds_write_b32 v17, v195 offset:1056                         // 00000000510C: D81A0420 0000C311
	ds_write_b32 v17, v196 offset:2176                         // 000000005114: D81A0880 0000C411
	ds_write_b32 v17, v197 offset:3232                         // 00000000511C: D81A0CA0 0000C511
	ds_write_b32 v17, v198 offset:4352                         // 000000005124: D81A1100 0000C611
	ds_write_b32 v17, v199 offset:5408                         // 00000000512C: D81A1520 0000C711
	ds_write_b32 v17, v200 offset:6528                         // 000000005134: D81A1980 0000C811
	ds_write_b32 v17, v201 offset:7584                         // 00000000513C: D81A1DA0 0000C911
	s_waitcnt lgkmcnt(0)                                       // 000000005144: BF8CC07F
	s_barrier                                                  // 000000005148: BF8A0000
	ds_read_b128 a[88:91], v28                                 // 00000000514C: DBFE0000 5800001C
	ds_read_b128 a[92:95], v28 offset:512                      // 000000005154: DBFE0200 5C00001C
	s_waitcnt vmcnt(8) lgkmcnt(0)                              // 00000000515C: BF8C0078
	s_barrier                                                  // 000000005160: BF8A0000
	buffer_load_dword v15, s[24:27], 0 idxen lds               // 000000005164: E0512000 8006000F
	s_mov_b32 m0, s77                                          // 00000000516C: BEFC004D
	v_add_u32_e32 v15, s69, v15                                // 000000005170: 681E1E45
	v_perm_b32 v100, v37, v36, s63                             // 000000005174: D1ED0064 00FE4925
	v_perm_b32 v101, v37, v36, s64                             // 00000000517C: D1ED0065 01024925
	v_perm_b32 v102, v39, v38, s63                             // 000000005184: D1ED0066 00FE4D27
	v_perm_b32 v103, v39, v38, s64                             // 00000000518C: D1ED0067 01024D27
	ds_write_b32 v19, v100 offset:4352                         // 000000005194: D81A1100 00006413
	ds_write_b32 v19, v101 offset:5408                         // 00000000519C: D81A1520 00006513
	ds_write_b32 v19, v102 offset:6528                         // 0000000051A4: D81A1980 00006613
	ds_write_b32 v19, v103 offset:7584                         // 0000000051AC: D81A1DA0 00006713
	ds_write_b32 v17, v36                                      // 0000000051B4: D81A0000 00002411
	ds_write_b32 v17, v37 offset:1056                          // 0000000051BC: D81A0420 00002511
	ds_write_b32 v17, v38 offset:2176                          // 0000000051C4: D81A0880 00002611
	ds_write_b32 v17, v39 offset:3232                          // 0000000051CC: D81A0CA0 00002711
	buffer_load_dword v15, s[24:27], 0 idxen lds               // 0000000051D4: E0512000 8006000F
	s_add_u32 s60, 64, s59                                     // 0000000051DC: 803C3BC0
	s_cmp_lt_u32 s60, s58                                      // 0000000051E0: BF0A3A3C
	s_cselect_b32 s69, s69, 0                                  // 0000000051E4: 85458045
	s_mov_b32 m0, s76                                          // 0000000051E8: BEFC004C
	v_add_u32_e32 v15, s69, v15                                // 0000000051EC: 681E1E45
	v_perm_b32 v104, v45, v44, s63                             // 0000000051F0: D1ED0068 00FE592D
	v_perm_b32 v105, v45, v44, s64                             // 0000000051F8: D1ED0069 0102592D
	v_perm_b32 v106, v47, v46, s63                             // 000000005200: D1ED006A 00FE5D2F
	v_perm_b32 v107, v47, v46, s64                             // 000000005208: D1ED006B 01025D2F
	ds_write_b32 v19, v104 offset:13056                        // 000000005210: D81A3300 00006813
	ds_write_b32 v19, v105 offset:14112                        // 000000005218: D81A3720 00006913
	ds_write_b32 v19, v106 offset:15232                        // 000000005220: D81A3B80 00006A13
	ds_write_b32 v19, v107 offset:16288                        // 000000005228: D81A3FA0 00006B13
	ds_write_b32 v17, v44 offset:8704                          // 000000005230: D81A2200 00002C11
	ds_write_b32 v17, v45 offset:9760                          // 000000005238: D81A2620 00002D11
	ds_write_b32 v17, v46 offset:10880                         // 000000005240: D81A2A80 00002E11
	ds_write_b32 v17, v47 offset:11936                         // 000000005248: D81A2EA0 00002F11
	s_waitcnt vmcnt(1) lgkmcnt(0)                              // 000000005250: BF8C0071
	s_barrier                                                  // 000000005254: BF8A0000
	ds_read_b128 a[96:99], v16                                 // 000000005258: DBFE0000 60000010
	ds_read_b128 a[100:103], v16 offset:512                    // 000000005260: DBFE0200 64000010
	ds_read_b128 a[104:107], v16 offset:2176                   // 000000005268: DBFE0880 68000010
	ds_read_b128 a[108:111], v16 offset:2688                   // 000000005270: DBFE0A80 6C000010
	ds_read_b128 v[108:111], v16 offset:8704                   // 000000005278: D9FE2200 6C000010
	ds_read_b128 v[112:115], v16 offset:9216                   // 000000005280: D9FE2400 70000010
	ds_read_b128 v[116:119], v16 offset:10880                  // 000000005288: D9FE2A80 74000010
	ds_read_b128 v[120:123], v16 offset:11392                  // 000000005290: D9FE2C80 78000010
	ds_read_b32 v140, v27 offset:35584                         // 000000005298: D86C8B00 8C00001B
	ds_read_b32 v144, v27 offset:35648                         // 0000000052A0: D86C8B40 9000001B
	ds_read_b32 v176, v27 offset:35840                         // 0000000052A8: D86C8C00 B000001B
	ds_read_b32 v177, v27 offset:35904                         // 0000000052B0: D86C8C40 B100001B
	v_accvgpr_write_b32 a112, 0                                // 0000000052B8: D3D94070 18000080
	v_mov_b32_e32 v178, 0                                      // 0000000052C0: 7F640280
	v_accvgpr_write_b32 a113, 0                                // 0000000052C4: D3D94071 18000080
	v_mov_b32_e32 v179, 0                                      // 0000000052CC: 7F660280
	v_accvgpr_write_b32 a114, 0                                // 0000000052D0: D3D94072 18000080
	v_mov_b32_e32 v180, 0                                      // 0000000052D8: 7F680280
	v_accvgpr_write_b32 a115, 0                                // 0000000052DC: D3D94073 18000080
	v_mov_b32_e32 v181, 0                                      // 0000000052E4: 7F6A0280
	v_accvgpr_write_b32 a116, 0                                // 0000000052E8: D3D94074 18000080
	v_mov_b32_e32 v182, 0                                      // 0000000052F0: 7F6C0280
	v_accvgpr_write_b32 a117, 0                                // 0000000052F4: D3D94075 18000080
	v_mov_b32_e32 v183, 0                                      // 0000000052FC: 7F6E0280
	v_accvgpr_write_b32 a118, 0                                // 000000005300: D3D94076 18000080
	v_mov_b32_e32 v184, 0                                      // 000000005308: 7F700280
	v_accvgpr_write_b32 a119, 0                                // 00000000530C: D3D94077 18000080
	v_mov_b32_e32 v185, 0                                      // 000000005314: 7F720280
	v_accvgpr_write_b32 a120, 0                                // 000000005318: D3D94078 18000080
	v_mov_b32_e32 v186, 0                                      // 000000005320: 7F740280
	v_accvgpr_write_b32 a121, 0                                // 000000005324: D3D94079 18000080
	v_mov_b32_e32 v187, 0                                      // 00000000532C: 7F760280
	v_accvgpr_write_b32 a122, 0                                // 000000005330: D3D9407A 18000080
	v_mov_b32_e32 v188, 0                                      // 000000005338: 7F780280
	v_accvgpr_write_b32 a123, 0                                // 00000000533C: D3D9407B 18000080
	v_mov_b32_e32 v189, 0                                      // 000000005344: 7F7A0280
	v_accvgpr_write_b32 a124, 0                                // 000000005348: D3D9407C 18000080
	v_mov_b32_e32 v190, 0                                      // 000000005350: 7F7C0280
	v_accvgpr_write_b32 a125, 0                                // 000000005354: D3D9407D 18000080
	v_mov_b32_e32 v191, 0                                      // 00000000535C: 7F7E0280
	v_accvgpr_write_b32 a126, 0                                // 000000005360: D3D9407E 18000080
	v_mov_b32_e32 v192, 0                                      // 000000005368: 7F800280
	v_accvgpr_write_b32 a127, 0                                // 00000000536C: D3D9407F 18000080
	v_mov_b32_e32 v193, 0                                      // 000000005374: 7F820280
	v_accvgpr_write_b32 a128, 0                                // 000000005378: D3D94080 18000080
	v_mov_b32_e32 v194, 0                                      // 000000005380: 7F840280
	v_accvgpr_write_b32 a129, 0                                // 000000005384: D3D94081 18000080
	v_mov_b32_e32 v195, 0                                      // 00000000538C: 7F860280
	v_accvgpr_write_b32 a130, 0                                // 000000005390: D3D94082 18000080
	v_mov_b32_e32 v196, 0                                      // 000000005398: 7F880280
	v_accvgpr_write_b32 a131, 0                                // 00000000539C: D3D94083 18000080
	v_mov_b32_e32 v197, 0                                      // 0000000053A4: 7F8A0280
	v_accvgpr_write_b32 a132, 0                                // 0000000053A8: D3D94084 18000080
	v_mov_b32_e32 v198, 0                                      // 0000000053B0: 7F8C0280
	v_accvgpr_write_b32 a133, 0                                // 0000000053B4: D3D94085 18000080
	v_mov_b32_e32 v199, 0                                      // 0000000053BC: 7F8E0280
	v_accvgpr_write_b32 a134, 0                                // 0000000053C0: D3D94086 18000080
	v_mov_b32_e32 v200, 0                                      // 0000000053C8: 7F900280
	v_accvgpr_write_b32 a135, 0                                // 0000000053CC: D3D94087 18000080
	v_mov_b32_e32 v201, 0                                      // 0000000053D4: 7F920280
	v_accvgpr_write_b32 a136, 0                                // 0000000053D8: D3D94088 18000080
	v_mov_b32_e32 v202, 0                                      // 0000000053E0: 7F940280
	v_accvgpr_write_b32 a137, 0                                // 0000000053E4: D3D94089 18000080
	v_mov_b32_e32 v203, 0                                      // 0000000053EC: 7F960280
	v_accvgpr_write_b32 a138, 0                                // 0000000053F0: D3D9408A 18000080
	v_mov_b32_e32 v204, 0                                      // 0000000053F8: 7F980280
	v_accvgpr_write_b32 a139, 0                                // 0000000053FC: D3D9408B 18000080
	v_mov_b32_e32 v205, 0                                      // 000000005404: 7F9A0280
	v_accvgpr_write_b32 a140, 0                                // 000000005408: D3D9408C 18000080
	v_mov_b32_e32 v206, 0                                      // 000000005410: 7F9C0280
	v_accvgpr_write_b32 a141, 0                                // 000000005414: D3D9408D 18000080
	v_mov_b32_e32 v207, 0                                      // 00000000541C: 7F9E0280
	v_accvgpr_write_b32 a142, 0                                // 000000005420: D3D9408E 18000080
	v_mov_b32_e32 v208, 0                                      // 000000005428: 7FA00280
	v_accvgpr_write_b32 a143, 0                                // 00000000542C: D3D9408F 18000080
	v_mov_b32_e32 v209, 0                                      // 000000005434: 7FA20280
	v_accvgpr_write_b32 a144, 0                                // 000000005438: D3D94090 18000080
	v_mov_b32_e32 v210, 0                                      // 000000005440: 7FA40280
	v_accvgpr_write_b32 a145, 0                                // 000000005444: D3D94091 18000080
	v_mov_b32_e32 v211, 0                                      // 00000000544C: 7FA60280
	v_accvgpr_write_b32 a146, 0                                // 000000005450: D3D94092 18000080
	v_mov_b32_e32 v212, 0                                      // 000000005458: 7FA80280
	v_accvgpr_write_b32 a147, 0                                // 00000000545C: D3D94093 18000080
	v_mov_b32_e32 v213, 0                                      // 000000005464: 7FAA0280
	v_accvgpr_write_b32 a148, 0                                // 000000005468: D3D94094 18000080
	v_mov_b32_e32 v214, 0                                      // 000000005470: 7FAC0280
	v_accvgpr_write_b32 a149, 0                                // 000000005474: D3D94095 18000080
	v_mov_b32_e32 v215, 0                                      // 00000000547C: 7FAE0280
	v_accvgpr_write_b32 a150, 0                                // 000000005480: D3D94096 18000080
	v_mov_b32_e32 v216, 0                                      // 000000005488: 7FB00280
	v_accvgpr_write_b32 a151, 0                                // 00000000548C: D3D94097 18000080
	v_mov_b32_e32 v217, 0                                      // 000000005494: 7FB20280
	v_accvgpr_write_b32 a152, 0                                // 000000005498: D3D94098 18000080
	v_mov_b32_e32 v218, 0                                      // 0000000054A0: 7FB40280
	v_accvgpr_write_b32 a153, 0                                // 0000000054A4: D3D94099 18000080
	v_mov_b32_e32 v219, 0                                      // 0000000054AC: 7FB60280
	v_accvgpr_write_b32 a154, 0                                // 0000000054B0: D3D9409A 18000080
	v_mov_b32_e32 v220, 0                                      // 0000000054B8: 7FB80280
	v_accvgpr_write_b32 a155, 0                                // 0000000054BC: D3D9409B 18000080
	v_mov_b32_e32 v221, 0                                      // 0000000054C4: 7FBA0280
	v_accvgpr_write_b32 a156, 0                                // 0000000054C8: D3D9409C 18000080
	v_mov_b32_e32 v222, 0                                      // 0000000054D0: 7FBC0280
	v_accvgpr_write_b32 a157, 0                                // 0000000054D4: D3D9409D 18000080
	v_mov_b32_e32 v223, 0                                      // 0000000054DC: 7FBE0280
	v_accvgpr_write_b32 a158, 0                                // 0000000054E0: D3D9409E 18000080
	v_mov_b32_e32 v224, 0                                      // 0000000054E8: 7FC00280
	v_accvgpr_write_b32 a159, 0                                // 0000000054EC: D3D9409F 18000080
	v_mov_b32_e32 v225, 0                                      // 0000000054F4: 7FC20280
	v_mov_b32_e32 v156, 0                                      // 0000000054F8: 7F380280
	v_mov_b32_e32 v157, 0                                      // 0000000054FC: 7F3A0280
	v_mov_b32_e32 v158, 0                                      // 000000005500: 7F3C0280
	v_mov_b32_e32 v159, 0                                      // 000000005504: 7F3E0280
	v_mov_b32_e32 v160, 0                                      // 000000005508: 7F400280
	v_mov_b32_e32 v161, 0                                      // 00000000550C: 7F420280
	v_mov_b32_e32 v162, 0                                      // 000000005510: 7F440280
	v_mov_b32_e32 v163, 0                                      // 000000005514: 7F460280
	v_mov_b32_e32 v148, 0                                      // 000000005518: 7F280280
	v_mov_b32_e32 v149, 0                                      // 00000000551C: 7F2A0280
	v_mov_b32_e32 v150, 0                                      // 000000005520: 7F2C0280
	v_mov_b32_e32 v151, 0                                      // 000000005524: 7F2E0280
	v_mov_b32_e32 v152, 0                                      // 000000005528: 7F300280
	v_mov_b32_e32 v153, 0                                      // 00000000552C: 7F320280
	v_mov_b32_e32 v154, 0                                      // 000000005530: 7F340280
	v_mov_b32_e32 v155, 0                                      // 000000005534: 7F360280
	s_waitcnt lgkmcnt(0)                                       // 000000005538: BF8CC07F
	s_barrier                                                  // 00000000553C: BF8A0000
	buffer_load_dword v36, v1, s[8:11], 0 idxen                // 000000005540: E0502000 80022401
	buffer_load_dword v37, v2, s[8:11], 0 idxen                // 000000005548: E0502000 80022502
	;; [unrolled: 1-line block ×4, first 2 shown]
	buffer_load_dword v44, v1, s[20:23], 0 idxen               // 000000005560: E0502000 80052C01
	buffer_load_dword v45, v2, s[20:23], 0 idxen               // 000000005568: E0502000 80052D02
	buffer_load_dword v46, v3, s[20:23], 0 idxen               // 000000005570: E0502000 80052E03
	buffer_load_dword v47, v4, s[20:23], 0 idxen               // 000000005578: E0502000 80052F04
	buffer_load_dword v15, s[24:27], 0 idxen lds               // 000000005580: E0512000 8006000F
	s_add_u32 s60, 0x60, s59                                   // 000000005588: 803C3BFF 00000060
	s_cmp_lt_u32 s60, s58                                      // 000000005590: BF0A3A3C
	s_cselect_b32 s68, s68, 0                                  // 000000005594: 85448044
	s_cselect_b32 s69, s69, 0                                  // 000000005598: 85458045
	s_mov_b32 m0, s77                                          // 00000000559C: BEFC004D
	v_add_u32_e32 v15, s69, v15                                // 0000000055A0: 681E1E45
	s_add_u32 s8, s68, s8                                      // 0000000055A4: 80080844
	s_addc_u32 s9, 0, s9                                       // 0000000055A8: 82090980
	s_add_u32 s20, s68, s20                                    // 0000000055AC: 80141444
	s_addc_u32 s21, 0, s21                                     // 0000000055B0: 82151580
	v_mul_f32_e32 v140, s49, v140                              // 0000000055B4: 0B191831
	v_mul_f32_e32 v144, s49, v144                              // 0000000055B8: 0B212031
	v_perm_b32 v100, v41, v40, s63                             // 0000000055BC: D1ED0064 00FE5129
	v_perm_b32 v101, v41, v40, s64                             // 0000000055C4: D1ED0065 01025129
	v_perm_b32 v102, v43, v42, s63                             // 0000000055CC: D1ED0066 00FE552B
	v_perm_b32 v103, v43, v42, s64                             // 0000000055D4: D1ED0067 0102552B
	v_perm_b32 v104, v49, v48, s63                             // 0000000055DC: D1ED0068 00FE6131
	v_perm_b32 v105, v49, v48, s64                             // 0000000055E4: D1ED0069 01026131
	v_perm_b32 v106, v51, v50, s63                             // 0000000055EC: D1ED006A 00FE6533
	v_perm_b32 v107, v51, v50, s64                             // 0000000055F4: D1ED006B 01026533
	v_mov_b32_dpp v143, v140 quad_perm:[3,3,3,3] row_mask:0xf bank_mask:0xf// 0000000055FC: 7F1E02FA FF00FF8C
	v_mov_b32_dpp v142, v140 quad_perm:[2,2,2,2] row_mask:0xf bank_mask:0xf// 000000005604: 7F1C02FA FF00AA8C
	v_mov_b32_dpp v141, v140 quad_perm:[1,1,1,1] row_mask:0xf bank_mask:0xf// 00000000560C: 7F1A02FA FF00558C
	v_mov_b32_dpp v140, v140 quad_perm:[0,0,0,0] row_mask:0xf bank_mask:0xf// 000000005614: 7F1802FA FF00008C
	v_mov_b32_dpp v147, v144 quad_perm:[3,3,3,3] row_mask:0xf bank_mask:0xf// 00000000561C: 7F2602FA FF00FF90
	v_mov_b32_dpp v146, v144 quad_perm:[2,2,2,2] row_mask:0xf bank_mask:0xf// 000000005624: 7F2402FA FF00AA90
	v_mov_b32_dpp v145, v144 quad_perm:[1,1,1,1] row_mask:0xf bank_mask:0xf// 00000000562C: 7F2202FA FF005590
	v_mov_b32_dpp v144, v144 quad_perm:[0,0,0,0] row_mask:0xf bank_mask:0xf// 000000005634: 7F2002FA FF000090
	s_waitcnt vmcnt(9)                                         // 00000000563C: BF8C0F79
	s_barrier                                                  // 000000005640: BF8A0000
	s_cmp_lt_i32 s47, 2                                        // 000000005644: BF04822F
	s_cbranch_scc0 label_0F10                                  // 000000005648: BF84097D
	s_nop 0                                                    // 00000000564C: BF800000
	s_nop 0                                                    // 000000005650: BF800000
	s_nop 0                                                    // 000000005654: BF800000

0000000000005658 <label_0596>:
	s_waitcnt lgkmcnt(4)                                       // 000000005658: BF8CC47F
	s_barrier                                                  // 00000000565C: BF8A0000
	v_mfma_f32_16x16x16_bf16 v[52:55], a[96:97], a[0:1], 0     // 000000005660: D3E10034 1A020160
	ds_write_b32 v17, v48 offset:8704                          // 000000005668: D81A2200 00003011
	ds_write_b32 v17, v49 offset:9760                          // 000000005670: D81A2620 00003111
	v_mfma_f32_16x16x16_bf16 v[52:55], a[98:99], a[2:3], v[52:55]// 000000005678: D3E10034 1CD20562
	v_mul_f32_e32 v148, s48, v148                              // 000000005680: 0B292830
	v_mul_f32_e32 v149, s48, v149                              // 000000005684: 0B2B2A30
	v_mfma_f32_16x16x16_bf16 v[52:55], a[100:101], a[4:5], v[52:55]// 000000005688: D3E10034 1CD20964
	ds_write_b32 v17, v50 offset:10880                         // 000000005690: D81A2A80 00003211
	ds_write_b32 v17, v51 offset:11936                         // 000000005698: D81A2EA0 00003311
	v_mfma_f32_16x16x16_bf16 v[52:55], a[102:103], a[6:7], v[52:55]// 0000000056A0: D3E10034 1CD20D66
	v_mul_f32_e32 v150, s48, v150                              // 0000000056A8: 0B2D2C30
	v_mul_f32_e32 v151, s48, v151                              // 0000000056AC: 0B2F2E30
	v_mfma_f32_16x16x16_bf16 v[56:59], a[96:97], a[8:9], 0     // 0000000056B0: D3E10038 1A021160
	v_mul_f32_e32 v152, s48, v152                              // 0000000056B8: 0B313030
	v_mul_f32_e32 v153, s48, v153                              // 0000000056BC: 0B333230
	v_mfma_f32_16x16x16_bf16 v[56:59], a[98:99], a[10:11], v[56:59]// 0000000056C0: D3E10038 1CE21562
	v_mul_f32_e32 v154, s48, v154                              // 0000000056C8: 0B353430
	v_mul_f32_e32 v155, s48, v155                              // 0000000056CC: 0B373630
	v_mfma_f32_16x16x16_bf16 v[56:59], a[100:101], a[12:13], v[56:59]// 0000000056D0: D3E10038 1CE21964
	v_cmp_u_f32_e64 s[74:75], v148, v148                       // 0000000056D8: D048004A 00032994
	v_bfe_u32 v226, v148, 16, 1                                // 0000000056E0: D1C800E2 02052194
	v_add3_u32 v226, v148, v226, v229                          // 0000000056E8: D1FF00E2 0797C594
	v_cndmask_b32_e64 v32, v226, v228, s[74:75]                // 0000000056F0: D1000020 012BC9E2
	v_lshrrev_b32_e32 v32, 16, v32                             // 0000000056F8: 20404090
	v_cmp_u_f32_e64 s[74:75], v149, v149                       // 0000000056FC: D048004A 00032B95
	v_bfe_u32 v226, v149, 16, 1                                // 000000005704: D1C800E2 02052195
	v_add3_u32 v226, v149, v226, v229                          // 00000000570C: D1FF00E2 0797C595
	v_cndmask_b32_e64 v33, v226, v228, s[74:75]                // 000000005714: D1000021 012BC9E2
	v_and_or_b32 v148, v33, v227, v32                          // 00000000571C: D2010094 0483C721
	v_cmp_u_f32_e64 s[74:75], v150, v150                       // 000000005724: D048004A 00032D96
	v_bfe_u32 v226, v150, 16, 1                                // 00000000572C: D1C800E2 02052196
	v_add3_u32 v226, v150, v226, v229                          // 000000005734: D1FF00E2 0797C596
	v_cndmask_b32_e64 v32, v226, v228, s[74:75]                // 00000000573C: D1000020 012BC9E2
	v_lshrrev_b32_e32 v32, 16, v32                             // 000000005744: 20404090
	v_cmp_u_f32_e64 s[74:75], v151, v151                       // 000000005748: D048004A 00032F97
	v_bfe_u32 v226, v151, 16, 1                                // 000000005750: D1C800E2 02052197
	v_add3_u32 v226, v151, v226, v229                          // 000000005758: D1FF00E2 0797C597
	v_cndmask_b32_e64 v33, v226, v228, s[74:75]                // 000000005760: D1000021 012BC9E2
	v_and_or_b32 v149, v33, v227, v32                          // 000000005768: D2010095 0483C721
	v_mfma_f32_16x16x16_bf16 v[56:59], a[102:103], a[14:15], v[56:59]// 000000005770: D3E10038 1CE21D66
	v_cmp_u_f32_e64 s[74:75], v152, v152                       // 000000005778: D048004A 00033198
	v_bfe_u32 v226, v152, 16, 1                                // 000000005780: D1C800E2 02052198
	v_add3_u32 v226, v152, v226, v229                          // 000000005788: D1FF00E2 0797C598
	v_cndmask_b32_e64 v32, v226, v228, s[74:75]                // 000000005790: D1000020 012BC9E2
	v_lshrrev_b32_e32 v32, 16, v32                             // 000000005798: 20404090
	v_cmp_u_f32_e64 s[74:75], v153, v153                       // 00000000579C: D048004A 00033399
	v_bfe_u32 v226, v153, 16, 1                                // 0000000057A4: D1C800E2 02052199
	v_add3_u32 v226, v153, v226, v229                          // 0000000057AC: D1FF00E2 0797C599
	v_cndmask_b32_e64 v33, v226, v228, s[74:75]                // 0000000057B4: D1000021 012BC9E2
	v_and_or_b32 v150, v33, v227, v32                          // 0000000057BC: D2010096 0483C721
	v_cmp_u_f32_e64 s[74:75], v154, v154                       // 0000000057C4: D048004A 0003359A
	v_bfe_u32 v226, v154, 16, 1                                // 0000000057CC: D1C800E2 0205219A
	v_add3_u32 v226, v154, v226, v229                          // 0000000057D4: D1FF00E2 0797C59A
	v_cndmask_b32_e64 v32, v226, v228, s[74:75]                // 0000000057DC: D1000020 012BC9E2
	v_lshrrev_b32_e32 v32, 16, v32                             // 0000000057E4: 20404090
	v_cmp_u_f32_e64 s[74:75], v155, v155                       // 0000000057E8: D048004A 0003379B
	v_bfe_u32 v226, v155, 16, 1                                // 0000000057F0: D1C800E2 0205219B
	v_add3_u32 v226, v155, v226, v229                          // 0000000057F8: D1FF00E2 0797C59B
	v_cndmask_b32_e64 v33, v226, v228, s[74:75]                // 000000005800: D1000021 012BC9E2
	v_and_or_b32 v151, v33, v227, v32                          // 000000005808: D2010097 0483C721
	v_mfma_f32_16x16x16_bf16 v[60:63], a[96:97], a[16:17], 0   // 000000005810: D3E1003C 1A022160
	ds_write_b64 v26, v[148:149] offset:31232                  // 000000005818: D89A7A00 0000941A
	v_mfma_f32_16x16x16_bf16 v[60:63], a[98:99], a[18:19], v[60:63]// 000000005820: D3E1003C 1CF22562
	v_mfma_f32_16x16x16_bf16 v[60:63], a[100:101], a[20:21], v[60:63]// 000000005828: D3E1003C 1CF22964
	ds_write_b64 v26, v[150:151] offset:31776                  // 000000005830: D89A7C20 0000961A
	v_mfma_f32_16x16x16_bf16 v[60:63], a[102:103], a[22:23], v[60:63]// 000000005838: D3E1003C 1CF22D66
	v_mfma_f32_16x16x16_bf16 v[64:67], a[104:105], a[0:1], 0   // 000000005840: D3E10040 1A020168
	ds_read_b128 v[124:127], v18 offset:13056                  // 000000005848: D9FE3300 7C000012
	ds_write_b32 v17, v40                                      // 000000005850: D81A0000 00002811
	v_mfma_f32_16x16x16_bf16 v[64:67], a[106:107], a[2:3], v[64:67]// 000000005858: D3E10040 1D02056A
	v_mfma_f32_16x16x16_bf16 v[64:67], a[108:109], a[4:5], v[64:67]// 000000005860: D3E10040 1D02096C
	v_mfma_f32_16x16x16_bf16 v[64:67], a[110:111], a[6:7], v[64:67]// 000000005868: D3E10040 1D020D6E
	ds_read_b128 v[128:131], v18 offset:13568                  // 000000005870: D9FE3500 80000012
	ds_write_b32 v17, v41 offset:1056                          // 000000005878: D81A0420 00002911
	v_mfma_f32_16x16x16_bf16 v[68:71], a[104:105], a[8:9], 0   // 000000005880: D3E10044 1A021168
	v_mfma_f32_16x16x16_bf16 v[68:71], a[106:107], a[10:11], v[68:71]// 000000005888: D3E10044 1D12156A
	v_mfma_f32_16x16x16_bf16 v[68:71], a[108:109], a[12:13], v[68:71]// 000000005890: D3E10044 1D12196C
	ds_read_b128 v[132:135], v18 offset:15232                  // 000000005898: D9FE3B80 84000012
	ds_write_b32 v17, v42 offset:2176                          // 0000000058A0: D81A0880 00002A11
	v_mfma_f32_16x16x16_bf16 v[68:71], a[110:111], a[14:15], v[68:71]// 0000000058A8: D3E10044 1D121D6E
	v_mfma_f32_16x16x16_bf16 v[72:75], a[104:105], a[16:17], 0 // 0000000058B0: D3E10048 1A022168
	v_mfma_f32_16x16x16_bf16 v[72:75], a[106:107], a[18:19], v[72:75]// 0000000058B8: D3E10048 1D22256A
	ds_read_b128 v[136:139], v18 offset:15744                  // 0000000058C0: D9FE3D80 88000012
	ds_write_b32 v17, v43 offset:3232                          // 0000000058C8: D81A0CA0 00002B11
	v_mfma_f32_16x16x16_bf16 v[72:75], a[108:109], a[20:21], v[72:75]// 0000000058D0: D3E10048 1D22296C
	v_mfma_f32_16x16x16_bf16 v[72:75], a[110:111], a[22:23], v[72:75]// 0000000058D8: D3E10048 1D222D6E
	s_cmp_lt_i32 s73, 3                                        // 0000000058E0: BF048349
	s_cbranch_scc0 label_0651                                  // 0000000058E4: BF840017
	s_cmp_eq_i32 s73, 1                                        // 0000000058E8: BF008149
	s_cbranch_scc1 label_063F                                  // 0000000058EC: BF850003
	s_cmp_eq_i32 s73, 2                                        // 0000000058F0: BF008249
	s_cbranch_scc1 label_0648                                  // 0000000058F4: BF85000A
	s_branch label_0651                                        // 0000000058F8: BF820012

00000000000058fc <label_063F>:
	v_mov_b32_e32 v56, v230                                    // 0000000058FC: 7E7003E6
	v_mov_b32_e32 v68, v230                                    // 000000005900: 7E8803E6
	v_mov_b32_e32 v57, v230                                    // 000000005904: 7E7203E6
	v_mov_b32_e32 v69, v230                                    // 000000005908: 7E8A03E6
	v_mov_b32_e32 v58, v230                                    // 00000000590C: 7E7403E6
	v_mov_b32_e32 v70, v230                                    // 000000005910: 7E8C03E6
	v_mov_b32_e32 v59, v230                                    // 000000005914: 7E7603E6
	v_mov_b32_e32 v71, v230                                    // 000000005918: 7E8E03E6
	s_branch label_0648                                        // 00000000591C: BF820000

0000000000005920 <label_0648>:
	v_mov_b32_e32 v60, v230                                    // 000000005920: 7E7803E6
	v_mov_b32_e32 v72, v230                                    // 000000005924: 7E9003E6
	v_mov_b32_e32 v61, v230                                    // 000000005928: 7E7A03E6
	v_mov_b32_e32 v73, v230                                    // 00000000592C: 7E9203E6
	v_mov_b32_e32 v62, v230                                    // 000000005930: 7E7C03E6
	v_mov_b32_e32 v74, v230                                    // 000000005934: 7E9403E6
	v_mov_b32_e32 v63, v230                                    // 000000005938: 7E7E03E6
	v_mov_b32_e32 v75, v230                                    // 00000000593C: 7E9603E6
	s_branch label_0651                                        // 000000005940: BF820000

0000000000005944 <label_0651>:
	s_waitcnt lgkmcnt(8)                                       // 000000005944: BF8CC87F
	s_barrier                                                  // 000000005948: BF8A0000
	v_mfma_f32_16x16x16_bf16 v[76:79], v[108:109], a[72:73], 0 // 00000000594C: D3E1004C 1202916C
	ds_read_b128 a[96:99], v18 offset:4352                     // 000000005954: DBFE1100 60000012
	ds_read_b128 a[100:103], v18 offset:4864                   // 00000000595C: DBFE1300 64000012
	v_mfma_f32_16x16x16_bf16 v[76:79], v[110:111], a[74:75], v[76:79]// 000000005964: D3E1004C 1532956E
	v_fma_f32 v52, v52, s57, -v140                             // 00000000596C: D1CB0034 86307334
	v_fma_f32 v53, v53, s57, -v141                             // 000000005974: D1CB0035 86347335
	v_fma_f32 v54, v54, s57, -v142                             // 00000000597C: D1CB0036 86387336
	v_fma_f32 v55, v55, s57, -v143                             // 000000005984: D1CB0037 863C7337
	v_fma_f32 v56, v56, s57, -v140                             // 00000000598C: D1CB0038 86307338
	v_fma_f32 v57, v57, s57, -v141                             // 000000005994: D1CB0039 86347339
	v_mfma_f32_16x16x16_bf16 v[76:79], v[112:113], a[76:77], v[76:79]// 00000000599C: D3E1004C 15329970
	v_fma_f32 v58, v58, s57, -v142                             // 0000000059A4: D1CB003A 8638733A
	v_fma_f32 v59, v59, s57, -v143                             // 0000000059AC: D1CB003B 863C733B
	v_fma_f32 v60, v60, s57, -v140                             // 0000000059B4: D1CB003C 8630733C
	v_fma_f32 v61, v61, s57, -v141                             // 0000000059BC: D1CB003D 8634733D
	v_fma_f32 v62, v62, s57, -v142                             // 0000000059C4: D1CB003E 8638733E
	v_fma_f32 v63, v63, s57, -v143                             // 0000000059CC: D1CB003F 863C733F
	v_mfma_f32_16x16x16_bf16 v[76:79], v[114:115], a[78:79], v[76:79]// 0000000059D4: D3E1004C 15329D72
	v_fma_f32 v64, v64, s57, -v144                             // 0000000059DC: D1CB0040 86407340
	v_fma_f32 v65, v65, s57, -v145                             // 0000000059E4: D1CB0041 86447341
	v_fma_f32 v66, v66, s57, -v146                             // 0000000059EC: D1CB0042 86487342
	v_fma_f32 v67, v67, s57, -v147                             // 0000000059F4: D1CB0043 864C7343
	v_fma_f32 v68, v68, s57, -v144                             // 0000000059FC: D1CB0044 86407344
	v_fma_f32 v69, v69, s57, -v145                             // 000000005A04: D1CB0045 86447345
	v_mfma_f32_16x16x16_bf16 v[80:83], v[108:109], a[80:81], 0 // 000000005A0C: D3E10050 1202A16C
	ds_read_b128 a[104:107], v18 offset:6528                   // 000000005A14: DBFE1980 68000012
	ds_read_b128 a[108:111], v18 offset:7040                   // 000000005A1C: DBFE1B80 6C000012
	v_mfma_f32_16x16x16_bf16 v[80:83], v[110:111], a[82:83], v[80:83]// 000000005A24: D3E10050 1542A56E
	v_fma_f32 v70, v70, s57, -v146                             // 000000005A2C: D1CB0046 86487346
	v_fma_f32 v71, v71, s57, -v147                             // 000000005A34: D1CB0047 864C7347
	v_fma_f32 v72, v72, s57, -v144                             // 000000005A3C: D1CB0048 86407348
	v_fma_f32 v73, v73, s57, -v145                             // 000000005A44: D1CB0049 86447349
	v_fma_f32 v74, v74, s57, -v146                             // 000000005A4C: D1CB004A 8648734A
	v_fma_f32 v75, v75, s57, -v147                             // 000000005A54: D1CB004B 864C734B
	v_mfma_f32_16x16x16_bf16 v[80:83], v[112:113], a[84:85], v[80:83]// 000000005A5C: D3E10050 1542A970
	v_exp_f32_e32 v52, v52                                     // 000000005A64: 7E684134
	v_exp_f32_e32 v53, v53                                     // 000000005A68: 7E6A4135
	v_mfma_f32_16x16x16_bf16 v[80:83], v[114:115], a[86:87], v[80:83]// 000000005A6C: D3E10050 1542AD72
	v_exp_f32_e32 v54, v54                                     // 000000005A74: 7E6C4136
	v_exp_f32_e32 v55, v55                                     // 000000005A78: 7E6E4137
	v_mfma_f32_16x16x16_bf16 v[84:87], v[108:109], a[88:89], 0 // 000000005A7C: D3E10054 1202B16C
	ds_read_b32 v156, v25 offset:31232                         // 000000005A84: D86C7A00 9C000019
	ds_read_b32 v157, v25 offset:31248                         // 000000005A8C: D86C7A10 9D000019
	v_mfma_f32_16x16x16_bf16 v[84:87], v[110:111], a[90:91], v[84:87]// 000000005A94: D3E10054 1552B56E
	v_exp_f32_e32 v56, v56                                     // 000000005A9C: 7E704138
	v_exp_f32_e32 v57, v57                                     // 000000005AA0: 7E724139
	v_mfma_f32_16x16x16_bf16 v[84:87], v[112:113], a[92:93], v[84:87]// 000000005AA4: D3E10054 1552B970
	ds_read_b32 v158, v25 offset:31264                         // 000000005AAC: D86C7A20 9E000019
	ds_read_b32 v159, v25 offset:31280                         // 000000005AB4: D86C7A30 9F000019
	v_mfma_f32_16x16x16_bf16 v[84:87], v[114:115], a[94:95], v[84:87]// 000000005ABC: D3E10054 1552BD72
	v_exp_f32_e32 v58, v58                                     // 000000005AC4: 7E74413A
	v_exp_f32_e32 v59, v59                                     // 000000005AC8: 7E76413B
	v_mfma_f32_16x16x16_bf16 v[88:91], v[116:117], a[72:73], 0 // 000000005ACC: D3E10058 12029174
	v_exp_f32_e32 v60, v60                                     // 000000005AD4: 7E78413C
	v_exp_f32_e32 v61, v61                                     // 000000005AD8: 7E7A413D
	v_mfma_f32_16x16x16_bf16 v[88:91], v[118:119], a[74:75], v[88:91]// 000000005ADC: D3E10058 15629576
	v_exp_f32_e32 v62, v62                                     // 000000005AE4: 7E7C413E
	v_exp_f32_e32 v63, v63                                     // 000000005AE8: 7E7E413F
	v_mfma_f32_16x16x16_bf16 v[88:91], v[120:121], a[76:77], v[88:91]// 000000005AEC: D3E10058 15629978
	v_exp_f32_e32 v64, v64                                     // 000000005AF4: 7E804140
	v_exp_f32_e32 v65, v65                                     // 000000005AF8: 7E824141
	v_mfma_f32_16x16x16_bf16 v[88:91], v[122:123], a[78:79], v[88:91]// 000000005AFC: D3E10058 15629D7A
	v_exp_f32_e32 v66, v66                                     // 000000005B04: 7E844142
	v_exp_f32_e32 v67, v67                                     // 000000005B08: 7E864143
	v_mfma_f32_16x16x16_bf16 v[92:95], v[116:117], a[80:81], 0 // 000000005B0C: D3E1005C 1202A174
	v_exp_f32_e32 v68, v68                                     // 000000005B14: 7E884144
	v_exp_f32_e32 v69, v69                                     // 000000005B18: 7E8A4145
	v_mfma_f32_16x16x16_bf16 v[92:95], v[118:119], a[82:83], v[92:95]// 000000005B1C: D3E1005C 1572A576
	v_exp_f32_e32 v70, v70                                     // 000000005B24: 7E8C4146
	v_exp_f32_e32 v71, v71                                     // 000000005B28: 7E8E4147
	v_mfma_f32_16x16x16_bf16 v[92:95], v[120:121], a[84:85], v[92:95]// 000000005B2C: D3E1005C 1572A978
	v_exp_f32_e32 v72, v72                                     // 000000005B34: 7E904148
	v_exp_f32_e32 v73, v73                                     // 000000005B38: 7E924149
	v_mfma_f32_16x16x16_bf16 v[92:95], v[122:123], a[86:87], v[92:95]// 000000005B3C: D3E1005C 1572AD7A
	v_exp_f32_e32 v74, v74                                     // 000000005B44: 7E94414A
	v_exp_f32_e32 v75, v75                                     // 000000005B48: 7E96414B
	v_mfma_f32_16x16x16_bf16 v[96:99], v[116:117], a[88:89], 0 // 000000005B4C: D3E10060 1202B174
	v_cmp_u_f32_e64 s[74:75], v52, v52                         // 000000005B54: D048004A 00026934
	v_bfe_u32 v226, v52, 16, 1                                 // 000000005B5C: D1C800E2 02052134
	v_add3_u32 v226, v52, v226, v229                           // 000000005B64: D1FF00E2 0797C534
	v_cndmask_b32_e64 v32, v226, v228, s[74:75]                // 000000005B6C: D1000020 012BC9E2
	v_lshrrev_b32_e32 v32, 16, v32                             // 000000005B74: 20404090
	v_cmp_u_f32_e64 s[74:75], v53, v53                         // 000000005B78: D048004A 00026B35
	v_bfe_u32 v226, v53, 16, 1                                 // 000000005B80: D1C800E2 02052135
	v_add3_u32 v226, v53, v226, v229                           // 000000005B88: D1FF00E2 0797C535
	v_cndmask_b32_e64 v33, v226, v228, s[74:75]                // 000000005B90: D1000021 012BC9E2
	v_and_or_b32 v164, v33, v227, v32                          // 000000005B98: D20100A4 0483C721
	v_cmp_u_f32_e64 s[74:75], v54, v54                         // 000000005BA0: D048004A 00026D36
	v_bfe_u32 v226, v54, 16, 1                                 // 000000005BA8: D1C800E2 02052136
	v_add3_u32 v226, v54, v226, v229                           // 000000005BB0: D1FF00E2 0797C536
	v_cndmask_b32_e64 v32, v226, v228, s[74:75]                // 000000005BB8: D1000020 012BC9E2
	v_lshrrev_b32_e32 v32, 16, v32                             // 000000005BC0: 20404090
	v_cmp_u_f32_e64 s[74:75], v55, v55                         // 000000005BC4: D048004A 00026F37
	v_bfe_u32 v226, v55, 16, 1                                 // 000000005BCC: D1C800E2 02052137
	v_add3_u32 v226, v55, v226, v229                           // 000000005BD4: D1FF00E2 0797C537
	v_cndmask_b32_e64 v33, v226, v228, s[74:75]                // 000000005BDC: D1000021 012BC9E2
	v_and_or_b32 v165, v33, v227, v32                          // 000000005BE4: D20100A5 0483C721
	v_cmp_u_f32_e64 s[74:75], v56, v56                         // 000000005BEC: D048004A 00027138
	v_bfe_u32 v226, v56, 16, 1                                 // 000000005BF4: D1C800E2 02052138
	v_add3_u32 v226, v56, v226, v229                           // 000000005BFC: D1FF00E2 0797C538
	v_cndmask_b32_e64 v32, v226, v228, s[74:75]                // 000000005C04: D1000020 012BC9E2
	v_lshrrev_b32_e32 v32, 16, v32                             // 000000005C0C: 20404090
	v_cmp_u_f32_e64 s[74:75], v57, v57                         // 000000005C10: D048004A 00027339
	v_bfe_u32 v226, v57, 16, 1                                 // 000000005C18: D1C800E2 02052139
	v_add3_u32 v226, v57, v226, v229                           // 000000005C20: D1FF00E2 0797C539
	v_cndmask_b32_e64 v33, v226, v228, s[74:75]                // 000000005C28: D1000021 012BC9E2
	v_and_or_b32 v166, v33, v227, v32                          // 000000005C30: D20100A6 0483C721
	v_cmp_u_f32_e64 s[74:75], v58, v58                         // 000000005C38: D048004A 0002753A
	v_bfe_u32 v226, v58, 16, 1                                 // 000000005C40: D1C800E2 0205213A
	v_add3_u32 v226, v58, v226, v229                           // 000000005C48: D1FF00E2 0797C53A
	v_cndmask_b32_e64 v32, v226, v228, s[74:75]                // 000000005C50: D1000020 012BC9E2
	v_lshrrev_b32_e32 v32, 16, v32                             // 000000005C58: 20404090
	v_cmp_u_f32_e64 s[74:75], v59, v59                         // 000000005C5C: D048004A 0002773B
	v_bfe_u32 v226, v59, 16, 1                                 // 000000005C64: D1C800E2 0205213B
	v_add3_u32 v226, v59, v226, v229                           // 000000005C6C: D1FF00E2 0797C53B
	v_cndmask_b32_e64 v33, v226, v228, s[74:75]                // 000000005C74: D1000021 012BC9E2
	v_and_or_b32 v167, v33, v227, v32                          // 000000005C7C: D20100A7 0483C721
	v_cmp_u_f32_e64 s[74:75], v60, v60                         // 000000005C84: D048004A 0002793C
	v_bfe_u32 v226, v60, 16, 1                                 // 000000005C8C: D1C800E2 0205213C
	v_add3_u32 v226, v60, v226, v229                           // 000000005C94: D1FF00E2 0797C53C
	v_cndmask_b32_e64 v32, v226, v228, s[74:75]                // 000000005C9C: D1000020 012BC9E2
	v_lshrrev_b32_e32 v32, 16, v32                             // 000000005CA4: 20404090
	v_cmp_u_f32_e64 s[74:75], v61, v61                         // 000000005CA8: D048004A 00027B3D
	v_bfe_u32 v226, v61, 16, 1                                 // 000000005CB0: D1C800E2 0205213D
	v_add3_u32 v226, v61, v226, v229                           // 000000005CB8: D1FF00E2 0797C53D
	v_cndmask_b32_e64 v33, v226, v228, s[74:75]                // 000000005CC0: D1000021 012BC9E2
	v_and_or_b32 v168, v33, v227, v32                          // 000000005CC8: D20100A8 0483C721
	v_cmp_u_f32_e64 s[74:75], v62, v62                         // 000000005CD0: D048004A 00027D3E
	v_bfe_u32 v226, v62, 16, 1                                 // 000000005CD8: D1C800E2 0205213E
	v_add3_u32 v226, v62, v226, v229                           // 000000005CE0: D1FF00E2 0797C53E
	v_cndmask_b32_e64 v32, v226, v228, s[74:75]                // 000000005CE8: D1000020 012BC9E2
	v_lshrrev_b32_e32 v32, 16, v32                             // 000000005CF0: 20404090
	v_cmp_u_f32_e64 s[74:75], v63, v63                         // 000000005CF4: D048004A 00027F3F
	v_bfe_u32 v226, v63, 16, 1                                 // 000000005CFC: D1C800E2 0205213F
	v_add3_u32 v226, v63, v226, v229                           // 000000005D04: D1FF00E2 0797C53F
	v_cndmask_b32_e64 v33, v226, v228, s[74:75]                // 000000005D0C: D1000021 012BC9E2
	v_and_or_b32 v169, v33, v227, v32                          // 000000005D14: D20100A9 0483C721
	v_mfma_f32_16x16x16_bf16 v[96:99], v[118:119], a[90:91], v[96:99]// 000000005D1C: D3E10060 1582B576
	v_cmp_u_f32_e64 s[74:75], v64, v64                         // 000000005D24: D048004A 00028140
	v_bfe_u32 v226, v64, 16, 1                                 // 000000005D2C: D1C800E2 02052140
	v_add3_u32 v226, v64, v226, v229                           // 000000005D34: D1FF00E2 0797C540
	v_cndmask_b32_e64 v32, v226, v228, s[74:75]                // 000000005D3C: D1000020 012BC9E2
	v_lshrrev_b32_e32 v32, 16, v32                             // 000000005D44: 20404090
	v_cmp_u_f32_e64 s[74:75], v65, v65                         // 000000005D48: D048004A 00028341
	v_bfe_u32 v226, v65, 16, 1                                 // 000000005D50: D1C800E2 02052141
	v_add3_u32 v226, v65, v226, v229                           // 000000005D58: D1FF00E2 0797C541
	v_cndmask_b32_e64 v33, v226, v228, s[74:75]                // 000000005D60: D1000021 012BC9E2
	v_and_or_b32 v170, v33, v227, v32                          // 000000005D68: D20100AA 0483C721
	v_cmp_u_f32_e64 s[74:75], v66, v66                         // 000000005D70: D048004A 00028542
	v_bfe_u32 v226, v66, 16, 1                                 // 000000005D78: D1C800E2 02052142
	v_add3_u32 v226, v66, v226, v229                           // 000000005D80: D1FF00E2 0797C542
	v_cndmask_b32_e64 v32, v226, v228, s[74:75]                // 000000005D88: D1000020 012BC9E2
	v_lshrrev_b32_e32 v32, 16, v32                             // 000000005D90: 20404090
	v_cmp_u_f32_e64 s[74:75], v67, v67                         // 000000005D94: D048004A 00028743
	v_bfe_u32 v226, v67, 16, 1                                 // 000000005D9C: D1C800E2 02052143
	v_add3_u32 v226, v67, v226, v229                           // 000000005DA4: D1FF00E2 0797C543
	v_cndmask_b32_e64 v33, v226, v228, s[74:75]                // 000000005DAC: D1000021 012BC9E2
	v_and_or_b32 v171, v33, v227, v32                          // 000000005DB4: D20100AB 0483C721
	v_cmp_u_f32_e64 s[74:75], v68, v68                         // 000000005DBC: D048004A 00028944
	v_bfe_u32 v226, v68, 16, 1                                 // 000000005DC4: D1C800E2 02052144
	v_add3_u32 v226, v68, v226, v229                           // 000000005DCC: D1FF00E2 0797C544
	v_cndmask_b32_e64 v32, v226, v228, s[74:75]                // 000000005DD4: D1000020 012BC9E2
	v_lshrrev_b32_e32 v32, 16, v32                             // 000000005DDC: 20404090
	v_cmp_u_f32_e64 s[74:75], v69, v69                         // 000000005DE0: D048004A 00028B45
	v_bfe_u32 v226, v69, 16, 1                                 // 000000005DE8: D1C800E2 02052145
	v_add3_u32 v226, v69, v226, v229                           // 000000005DF0: D1FF00E2 0797C545
	v_cndmask_b32_e64 v33, v226, v228, s[74:75]                // 000000005DF8: D1000021 012BC9E2
	v_and_or_b32 v172, v33, v227, v32                          // 000000005E00: D20100AC 0483C721
	v_cmp_u_f32_e64 s[74:75], v70, v70                         // 000000005E08: D048004A 00028D46
	v_bfe_u32 v226, v70, 16, 1                                 // 000000005E10: D1C800E2 02052146
	v_add3_u32 v226, v70, v226, v229                           // 000000005E18: D1FF00E2 0797C546
	v_cndmask_b32_e64 v32, v226, v228, s[74:75]                // 000000005E20: D1000020 012BC9E2
	v_lshrrev_b32_e32 v32, 16, v32                             // 000000005E28: 20404090
	v_cmp_u_f32_e64 s[74:75], v71, v71                         // 000000005E2C: D048004A 00028F47
	v_bfe_u32 v226, v71, 16, 1                                 // 000000005E34: D1C800E2 02052147
	v_add3_u32 v226, v71, v226, v229                           // 000000005E3C: D1FF00E2 0797C547
	v_cndmask_b32_e64 v33, v226, v228, s[74:75]                // 000000005E44: D1000021 012BC9E2
	v_and_or_b32 v173, v33, v227, v32                          // 000000005E4C: D20100AD 0483C721
	v_cmp_u_f32_e64 s[74:75], v72, v72                         // 000000005E54: D048004A 00029148
	v_bfe_u32 v226, v72, 16, 1                                 // 000000005E5C: D1C800E2 02052148
	v_add3_u32 v226, v72, v226, v229                           // 000000005E64: D1FF00E2 0797C548
	v_cndmask_b32_e64 v32, v226, v228, s[74:75]                // 000000005E6C: D1000020 012BC9E2
	v_lshrrev_b32_e32 v32, 16, v32                             // 000000005E74: 20404090
	v_cmp_u_f32_e64 s[74:75], v73, v73                         // 000000005E78: D048004A 00029349
	v_bfe_u32 v226, v73, 16, 1                                 // 000000005E80: D1C800E2 02052149
	v_add3_u32 v226, v73, v226, v229                           // 000000005E88: D1FF00E2 0797C549
	v_cndmask_b32_e64 v33, v226, v228, s[74:75]                // 000000005E90: D1000021 012BC9E2
	v_and_or_b32 v174, v33, v227, v32                          // 000000005E98: D20100AE 0483C721
	v_cmp_u_f32_e64 s[74:75], v74, v74                         // 000000005EA0: D048004A 0002954A
	v_bfe_u32 v226, v74, 16, 1                                 // 000000005EA8: D1C800E2 0205214A
	v_add3_u32 v226, v74, v226, v229                           // 000000005EB0: D1FF00E2 0797C54A
	v_cndmask_b32_e64 v32, v226, v228, s[74:75]                // 000000005EB8: D1000020 012BC9E2
	v_lshrrev_b32_e32 v32, 16, v32                             // 000000005EC0: 20404090
	v_cmp_u_f32_e64 s[74:75], v75, v75                         // 000000005EC4: D048004A 0002974B
	v_bfe_u32 v226, v75, 16, 1                                 // 000000005ECC: D1C800E2 0205214B
	v_add3_u32 v226, v75, v226, v229                           // 000000005ED4: D1FF00E2 0797C54B
	v_cndmask_b32_e64 v33, v226, v228, s[74:75]                // 000000005EDC: D1000021 012BC9E2
	v_and_or_b32 v175, v33, v227, v32                          // 000000005EE4: D20100AF 0483C721
	v_mfma_f32_16x16x16_bf16 v[96:99], v[120:121], a[92:93], v[96:99]// 000000005EEC: D3E10060 1582B978
	s_add_u32 s32, s66, s32                                    // 000000005EF4: 80202042
	s_addc_u32 s33, 0, s33                                     // 000000005EF8: 82212180
	v_mfma_f32_16x16x16_bf16 v[96:99], v[122:123], a[94:95], v[96:99]// 000000005EFC: D3E10060 1582BD7A
	s_waitcnt lgkmcnt(0)                                       // 000000005F04: BF8CC07F
	s_barrier                                                  // 000000005F08: BF8A0000
	v_mfma_f32_16x16x16_bf16 v[178:181], v[124:125], v[164:165], v[178:181]// 000000005F0C: D3E100B2 06CB497C
	v_subrev_f32_dpp v76, v176, v76 quad_perm:[0,0,0,0] row_mask:0xf bank_mask:0xf// 000000005F14: 069898FA FF0000B0
	v_subrev_f32_dpp v77, v176, v77 quad_perm:[1,1,1,1] row_mask:0xf bank_mask:0xf// 000000005F1C: 069A9AFA FF0055B0
	v_subrev_f32_dpp v78, v176, v78 quad_perm:[2,2,2,2] row_mask:0xf bank_mask:0xf// 000000005F24: 069C9CFA FF00AAB0
	v_subrev_f32_dpp v79, v176, v79 quad_perm:[3,3,3,3] row_mask:0xf bank_mask:0xf// 000000005F2C: 069E9EFA FF00FFB0
	v_subrev_f32_dpp v80, v176, v80 quad_perm:[0,0,0,0] row_mask:0xf bank_mask:0xf// 000000005F34: 06A0A0FA FF0000B0
	v_subrev_f32_dpp v81, v176, v81 quad_perm:[1,1,1,1] row_mask:0xf bank_mask:0xf// 000000005F3C: 06A2A2FA FF0055B0
	v_mfma_f32_16x16x16_bf16 v[182:185], v[126:127], v[164:165], v[182:185]// 000000005F44: D3E100B6 06DB497E
	v_subrev_f32_dpp v82, v176, v82 quad_perm:[2,2,2,2] row_mask:0xf bank_mask:0xf// 000000005F4C: 06A4A4FA FF00AAB0
	v_subrev_f32_dpp v83, v176, v83 quad_perm:[3,3,3,3] row_mask:0xf bank_mask:0xf// 000000005F54: 06A6A6FA FF00FFB0
	v_subrev_f32_dpp v84, v176, v84 quad_perm:[0,0,0,0] row_mask:0xf bank_mask:0xf// 000000005F5C: 06A8A8FA FF0000B0
	v_subrev_f32_dpp v85, v176, v85 quad_perm:[1,1,1,1] row_mask:0xf bank_mask:0xf// 000000005F64: 06AAAAFA FF0055B0
	v_subrev_f32_dpp v86, v176, v86 quad_perm:[2,2,2,2] row_mask:0xf bank_mask:0xf// 000000005F6C: 06ACACFA FF00AAB0
	v_subrev_f32_dpp v87, v176, v87 quad_perm:[3,3,3,3] row_mask:0xf bank_mask:0xf// 000000005F74: 06AEAEFA FF00FFB0
	v_mfma_f32_16x16x16_bf16 v[186:189], v[128:129], v[164:165], v[186:189]// 000000005F7C: D3E100BA 06EB4980
	v_mul_f32_e32 v76, v52, v76                                // 000000005F84: 0A989934
	v_mul_f32_e32 v77, v53, v77                                // 000000005F88: 0A9A9B35
	v_mul_f32_e32 v78, v54, v78                                // 000000005F8C: 0A9C9D36
	v_mul_f32_e32 v79, v55, v79                                // 000000005F90: 0A9E9F37
	v_mul_f32_e32 v80, v56, v80                                // 000000005F94: 0AA0A138
	v_mul_f32_e32 v81, v57, v81                                // 000000005F98: 0AA2A339
	v_mfma_f32_16x16x16_bf16 v[190:193], v[130:131], v[164:165], v[190:193]// 000000005F9C: D3E100BE 06FB4982
	v_mul_f32_e32 v82, v58, v82                                // 000000005FA4: 0AA4A53A
	v_mul_f32_e32 v83, v59, v83                                // 000000005FA8: 0AA6A73B
	v_mul_f32_e32 v84, v60, v84                                // 000000005FAC: 0AA8A93C
	v_mul_f32_e32 v85, v61, v85                                // 000000005FB0: 0AAAAB3D
	v_mul_f32_e32 v86, v62, v86                                // 000000005FB4: 0AACAD3E
	v_mul_f32_e32 v87, v63, v87                                // 000000005FB8: 0AAEAF3F
	v_mfma_f32_16x16x16_bf16 v[194:197], v[124:125], v[166:167], v[194:197]// 000000005FBC: D3E100C2 070B4D7C
	v_cmp_u_f32_e64 s[74:75], v76, v76                         // 000000005FC4: D048004A 0002994C
	v_bfe_u32 v226, v76, 16, 1                                 // 000000005FCC: D1C800E2 0205214C
	v_add3_u32 v226, v76, v226, v229                           // 000000005FD4: D1FF00E2 0797C54C
	v_cndmask_b32_e64 v32, v226, v228, s[74:75]                // 000000005FDC: D1000020 012BC9E2
	v_lshrrev_b32_e32 v32, 16, v32                             // 000000005FE4: 20404090
	v_cmp_u_f32_e64 s[74:75], v77, v77                         // 000000005FE8: D048004A 00029B4D
	v_bfe_u32 v226, v77, 16, 1                                 // 000000005FF0: D1C800E2 0205214D
	v_add3_u32 v226, v77, v226, v229                           // 000000005FF8: D1FF00E2 0797C54D
	v_cndmask_b32_e64 v33, v226, v228, s[74:75]                // 000000006000: D1000021 012BC9E2
	v_and_or_b32 v76, v33, v227, v32                           // 000000006008: D201004C 0483C721
	v_cmp_u_f32_e64 s[74:75], v78, v78                         // 000000006010: D048004A 00029D4E
	v_bfe_u32 v226, v78, 16, 1                                 // 000000006018: D1C800E2 0205214E
	v_add3_u32 v226, v78, v226, v229                           // 000000006020: D1FF00E2 0797C54E
	v_cndmask_b32_e64 v32, v226, v228, s[74:75]                // 000000006028: D1000020 012BC9E2
	v_lshrrev_b32_e32 v32, 16, v32                             // 000000006030: 20404090
	v_cmp_u_f32_e64 s[74:75], v79, v79                         // 000000006034: D048004A 00029F4F
	v_bfe_u32 v226, v79, 16, 1                                 // 00000000603C: D1C800E2 0205214F
	v_add3_u32 v226, v79, v226, v229                           // 000000006044: D1FF00E2 0797C54F
	v_cndmask_b32_e64 v33, v226, v228, s[74:75]                // 00000000604C: D1000021 012BC9E2
	v_and_or_b32 v77, v33, v227, v32                           // 000000006054: D201004D 0483C721
	v_cmp_u_f32_e64 s[74:75], v80, v80                         // 00000000605C: D048004A 0002A150
	v_bfe_u32 v226, v80, 16, 1                                 // 000000006064: D1C800E2 02052150
	v_add3_u32 v226, v80, v226, v229                           // 00000000606C: D1FF00E2 0797C550
	v_cndmask_b32_e64 v32, v226, v228, s[74:75]                // 000000006074: D1000020 012BC9E2
	v_lshrrev_b32_e32 v32, 16, v32                             // 00000000607C: 20404090
	v_cmp_u_f32_e64 s[74:75], v81, v81                         // 000000006080: D048004A 0002A351
	v_bfe_u32 v226, v81, 16, 1                                 // 000000006088: D1C800E2 02052151
	v_add3_u32 v226, v81, v226, v229                           // 000000006090: D1FF00E2 0797C551
	v_cndmask_b32_e64 v33, v226, v228, s[74:75]                // 000000006098: D1000021 012BC9E2
	v_and_or_b32 v78, v33, v227, v32                           // 0000000060A0: D201004E 0483C721
	v_cmp_u_f32_e64 s[74:75], v82, v82                         // 0000000060A8: D048004A 0002A552
	v_bfe_u32 v226, v82, 16, 1                                 // 0000000060B0: D1C800E2 02052152
	v_add3_u32 v226, v82, v226, v229                           // 0000000060B8: D1FF00E2 0797C552
	v_cndmask_b32_e64 v32, v226, v228, s[74:75]                // 0000000060C0: D1000020 012BC9E2
	v_lshrrev_b32_e32 v32, 16, v32                             // 0000000060C8: 20404090
	v_cmp_u_f32_e64 s[74:75], v83, v83                         // 0000000060CC: D048004A 0002A753
	v_bfe_u32 v226, v83, 16, 1                                 // 0000000060D4: D1C800E2 02052153
	v_add3_u32 v226, v83, v226, v229                           // 0000000060DC: D1FF00E2 0797C553
	v_cndmask_b32_e64 v33, v226, v228, s[74:75]                // 0000000060E4: D1000021 012BC9E2
	v_and_or_b32 v79, v33, v227, v32                           // 0000000060EC: D201004F 0483C721
	v_cmp_u_f32_e64 s[74:75], v84, v84                         // 0000000060F4: D048004A 0002A954
	v_bfe_u32 v226, v84, 16, 1                                 // 0000000060FC: D1C800E2 02052154
	v_add3_u32 v226, v84, v226, v229                           // 000000006104: D1FF00E2 0797C554
	v_cndmask_b32_e64 v32, v226, v228, s[74:75]                // 00000000610C: D1000020 012BC9E2
	v_lshrrev_b32_e32 v32, 16, v32                             // 000000006114: 20404090
	v_cmp_u_f32_e64 s[74:75], v85, v85                         // 000000006118: D048004A 0002AB55
	v_bfe_u32 v226, v85, 16, 1                                 // 000000006120: D1C800E2 02052155
	v_add3_u32 v226, v85, v226, v229                           // 000000006128: D1FF00E2 0797C555
	v_cndmask_b32_e64 v33, v226, v228, s[74:75]                // 000000006130: D1000021 012BC9E2
	v_and_or_b32 v80, v33, v227, v32                           // 000000006138: D2010050 0483C721
	v_cmp_u_f32_e64 s[74:75], v86, v86                         // 000000006140: D048004A 0002AD56
	v_bfe_u32 v226, v86, 16, 1                                 // 000000006148: D1C800E2 02052156
	v_add3_u32 v226, v86, v226, v229                           // 000000006150: D1FF00E2 0797C556
	v_cndmask_b32_e64 v32, v226, v228, s[74:75]                // 000000006158: D1000020 012BC9E2
	v_lshrrev_b32_e32 v32, 16, v32                             // 000000006160: 20404090
	v_cmp_u_f32_e64 s[74:75], v87, v87                         // 000000006164: D048004A 0002AF57
	v_bfe_u32 v226, v87, 16, 1                                 // 00000000616C: D1C800E2 02052157
	v_add3_u32 v226, v87, v226, v229                           // 000000006174: D1FF00E2 0797C557
	v_cndmask_b32_e64 v33, v226, v228, s[74:75]                // 00000000617C: D1000021 012BC9E2
	v_and_or_b32 v81, v33, v227, v32                           // 000000006184: D2010051 0483C721
	v_mfma_f32_16x16x16_bf16 v[198:201], v[126:127], v[166:167], v[198:201]// 00000000618C: D3E100C6 071B4D7E
	v_mov_b32_dpp v22, v76 quad_perm:[1,0,3,2] row_mask:0xf bank_mask:0xf// 000000006194: 7E2C02FA FF00B14C
	v_perm_b32 v52, v22, v76, v21                              // 00000000619C: D1ED0034 04569916
	v_mov_b32_dpp v22, v77 quad_perm:[1,0,3,2] row_mask:0xf bank_mask:0xf// 0000000061A4: 7E2C02FA FF00B14D
	v_perm_b32 v53, v22, v77, v21                              // 0000000061AC: D1ED0035 04569B16
	v_mov_b32_dpp v22, v78 quad_perm:[1,0,3,2] row_mask:0xf bank_mask:0xf// 0000000061B4: 7E2C02FA FF00B14E
	v_perm_b32 v54, v22, v78, v21                              // 0000000061BC: D1ED0036 04569D16
	v_mfma_f32_16x16x16_bf16 v[202:205], v[128:129], v[166:167], v[202:205]// 0000000061C4: D3E100CA 072B4D80
	v_mov_b32_dpp v22, v79 quad_perm:[1,0,3,2] row_mask:0xf bank_mask:0xf// 0000000061CC: 7E2C02FA FF00B14F
	v_perm_b32 v55, v22, v79, v21                              // 0000000061D4: D1ED0037 04569F16
	v_mov_b32_dpp v22, v80 quad_perm:[1,0,3,2] row_mask:0xf bank_mask:0xf// 0000000061DC: 7E2C02FA FF00B150
	v_perm_b32 v56, v22, v80, v21                              // 0000000061E4: D1ED0038 0456A116
	v_mov_b32_dpp v22, v81 quad_perm:[1,0,3,2] row_mask:0xf bank_mask:0xf// 0000000061EC: 7E2C02FA FF00B151
	v_perm_b32 v57, v22, v81, v21                              // 0000000061F4: D1ED0039 0456A316
	v_mfma_f32_16x16x16_bf16 v[206:209], v[130:131], v[166:167], v[206:209]// 0000000061FC: D3E100CE 073B4D82
	ds_write_b32 v24, v52 offset:17408                         // 000000006204: D81A4400 00003418
	ds_write_b32 v24, v53 offset:17952                         // 00000000620C: D81A4620 00003518
	v_mfma_f32_16x16x16_bf16 v[210:213], v[124:125], v[168:169], v[210:213]// 000000006214: D3E100D2 074B517C
	v_subrev_f32_dpp v88, v177, v88 quad_perm:[0,0,0,0] row_mask:0xf bank_mask:0xf// 00000000621C: 06B0B0FA FF0000B1
	v_subrev_f32_dpp v89, v177, v89 quad_perm:[1,1,1,1] row_mask:0xf bank_mask:0xf// 000000006224: 06B2B2FA FF0055B1
	v_subrev_f32_dpp v90, v177, v90 quad_perm:[2,2,2,2] row_mask:0xf bank_mask:0xf// 00000000622C: 06B4B4FA FF00AAB1
	v_subrev_f32_dpp v91, v177, v91 quad_perm:[3,3,3,3] row_mask:0xf bank_mask:0xf// 000000006234: 06B6B6FA FF00FFB1
	v_subrev_f32_dpp v92, v177, v92 quad_perm:[0,0,0,0] row_mask:0xf bank_mask:0xf// 00000000623C: 06B8B8FA FF0000B1
	v_subrev_f32_dpp v93, v177, v93 quad_perm:[1,1,1,1] row_mask:0xf bank_mask:0xf// 000000006244: 06BABAFA FF0055B1
	v_mfma_f32_16x16x16_bf16 v[214:217], v[126:127], v[168:169], v[214:217]// 00000000624C: D3E100D6 075B517E
	ds_write_b32 v24, v54 offset:19712                         // 000000006254: D81A4D00 00003618
	ds_write_b32 v24, v55 offset:20256                         // 00000000625C: D81A4F20 00003718
	v_mfma_f32_16x16x16_bf16 v[218:221], v[128:129], v[168:169], v[218:221]// 000000006264: D3E100DA 076B5180
	v_subrev_f32_dpp v94, v177, v94 quad_perm:[2,2,2,2] row_mask:0xf bank_mask:0xf// 00000000626C: 06BCBCFA FF00AAB1
	v_subrev_f32_dpp v95, v177, v95 quad_perm:[3,3,3,3] row_mask:0xf bank_mask:0xf// 000000006274: 06BEBEFA FF00FFB1
	v_subrev_f32_dpp v96, v177, v96 quad_perm:[0,0,0,0] row_mask:0xf bank_mask:0xf// 00000000627C: 06C0C0FA FF0000B1
	v_subrev_f32_dpp v97, v177, v97 quad_perm:[1,1,1,1] row_mask:0xf bank_mask:0xf// 000000006284: 06C2C2FA FF0055B1
	v_subrev_f32_dpp v98, v177, v98 quad_perm:[2,2,2,2] row_mask:0xf bank_mask:0xf// 00000000628C: 06C4C4FA FF00AAB1
	v_subrev_f32_dpp v99, v177, v99 quad_perm:[3,3,3,3] row_mask:0xf bank_mask:0xf// 000000006294: 06C6C6FA FF00FFB1
	v_mfma_f32_16x16x16_bf16 v[222:225], v[130:131], v[168:169], v[222:225]// 00000000629C: D3E100DE 077B5182
	ds_write_b32 v24, v56 offset:22016                         // 0000000062A4: D81A5600 00003818
	ds_write_b32 v24, v57 offset:22560                         // 0000000062AC: D81A5820 00003918
	v_mfma_f32_16x16x16_bf16 v[178:181], v[132:133], v[170:171], v[178:181]// 0000000062B4: D3E100B2 06CB5584
	v_mul_f32_e32 v88, v64, v88                                // 0000000062BC: 0AB0B140
	v_mul_f32_e32 v89, v65, v89                                // 0000000062C0: 0AB2B341
	v_mul_f32_e32 v90, v66, v90                                // 0000000062C4: 0AB4B542
	v_mul_f32_e32 v91, v67, v91                                // 0000000062C8: 0AB6B743
	v_mul_f32_e32 v92, v68, v92                                // 0000000062CC: 0AB8B944
	v_mul_f32_e32 v93, v69, v93                                // 0000000062D0: 0ABABB45
	v_mfma_f32_16x16x16_bf16 v[182:185], v[134:135], v[170:171], v[182:185]// 0000000062D4: D3E100B6 06DB5586
	v_mul_f32_e32 v94, v70, v94                                // 0000000062DC: 0ABCBD46
	v_mul_f32_e32 v95, v71, v95                                // 0000000062E0: 0ABEBF47
	v_mul_f32_e32 v96, v72, v96                                // 0000000062E4: 0AC0C148
	v_mul_f32_e32 v97, v73, v97                                // 0000000062E8: 0AC2C349
	v_mul_f32_e32 v98, v74, v98                                // 0000000062EC: 0AC4C54A
	v_mul_f32_e32 v99, v75, v99                                // 0000000062F0: 0AC6C74B
	v_mfma_f32_16x16x16_bf16 v[186:189], v[136:137], v[170:171], v[186:189]// 0000000062F4: D3E100BA 06EB5588
	v_cmp_u_f32_e64 s[74:75], v88, v88                         // 0000000062FC: D048004A 0002B158
	v_bfe_u32 v226, v88, 16, 1                                 // 000000006304: D1C800E2 02052158
	v_add3_u32 v226, v88, v226, v229                           // 00000000630C: D1FF00E2 0797C558
	v_cndmask_b32_e64 v32, v226, v228, s[74:75]                // 000000006314: D1000020 012BC9E2
	v_lshrrev_b32_e32 v32, 16, v32                             // 00000000631C: 20404090
	v_cmp_u_f32_e64 s[74:75], v89, v89                         // 000000006320: D048004A 0002B359
	v_bfe_u32 v226, v89, 16, 1                                 // 000000006328: D1C800E2 02052159
	v_add3_u32 v226, v89, v226, v229                           // 000000006330: D1FF00E2 0797C559
	v_cndmask_b32_e64 v33, v226, v228, s[74:75]                // 000000006338: D1000021 012BC9E2
	v_and_or_b32 v82, v33, v227, v32                           // 000000006340: D2010052 0483C721
	v_cmp_u_f32_e64 s[74:75], v90, v90                         // 000000006348: D048004A 0002B55A
	v_bfe_u32 v226, v90, 16, 1                                 // 000000006350: D1C800E2 0205215A
	v_add3_u32 v226, v90, v226, v229                           // 000000006358: D1FF00E2 0797C55A
	v_cndmask_b32_e64 v32, v226, v228, s[74:75]                // 000000006360: D1000020 012BC9E2
	v_lshrrev_b32_e32 v32, 16, v32                             // 000000006368: 20404090
	v_cmp_u_f32_e64 s[74:75], v91, v91                         // 00000000636C: D048004A 0002B75B
	v_bfe_u32 v226, v91, 16, 1                                 // 000000006374: D1C800E2 0205215B
	v_add3_u32 v226, v91, v226, v229                           // 00000000637C: D1FF00E2 0797C55B
	v_cndmask_b32_e64 v33, v226, v228, s[74:75]                // 000000006384: D1000021 012BC9E2
	v_and_or_b32 v83, v33, v227, v32                           // 00000000638C: D2010053 0483C721
	v_cmp_u_f32_e64 s[74:75], v92, v92                         // 000000006394: D048004A 0002B95C
	v_bfe_u32 v226, v92, 16, 1                                 // 00000000639C: D1C800E2 0205215C
	v_add3_u32 v226, v92, v226, v229                           // 0000000063A4: D1FF00E2 0797C55C
	v_cndmask_b32_e64 v32, v226, v228, s[74:75]                // 0000000063AC: D1000020 012BC9E2
	v_lshrrev_b32_e32 v32, 16, v32                             // 0000000063B4: 20404090
	v_cmp_u_f32_e64 s[74:75], v93, v93                         // 0000000063B8: D048004A 0002BB5D
	v_bfe_u32 v226, v93, 16, 1                                 // 0000000063C0: D1C800E2 0205215D
	v_add3_u32 v226, v93, v226, v229                           // 0000000063C8: D1FF00E2 0797C55D
	v_cndmask_b32_e64 v33, v226, v228, s[74:75]                // 0000000063D0: D1000021 012BC9E2
	v_and_or_b32 v84, v33, v227, v32                           // 0000000063D8: D2010054 0483C721
	v_cmp_u_f32_e64 s[74:75], v94, v94                         // 0000000063E0: D048004A 0002BD5E
	v_bfe_u32 v226, v94, 16, 1                                 // 0000000063E8: D1C800E2 0205215E
	v_add3_u32 v226, v94, v226, v229                           // 0000000063F0: D1FF00E2 0797C55E
	v_cndmask_b32_e64 v32, v226, v228, s[74:75]                // 0000000063F8: D1000020 012BC9E2
	v_lshrrev_b32_e32 v32, 16, v32                             // 000000006400: 20404090
	v_cmp_u_f32_e64 s[74:75], v95, v95                         // 000000006404: D048004A 0002BF5F
	v_bfe_u32 v226, v95, 16, 1                                 // 00000000640C: D1C800E2 0205215F
	v_add3_u32 v226, v95, v226, v229                           // 000000006414: D1FF00E2 0797C55F
	v_cndmask_b32_e64 v33, v226, v228, s[74:75]                // 00000000641C: D1000021 012BC9E2
	v_and_or_b32 v85, v33, v227, v32                           // 000000006424: D2010055 0483C721
	v_cmp_u_f32_e64 s[74:75], v96, v96                         // 00000000642C: D048004A 0002C160
	v_bfe_u32 v226, v96, 16, 1                                 // 000000006434: D1C800E2 02052160
	v_add3_u32 v226, v96, v226, v229                           // 00000000643C: D1FF00E2 0797C560
	v_cndmask_b32_e64 v32, v226, v228, s[74:75]                // 000000006444: D1000020 012BC9E2
	v_lshrrev_b32_e32 v32, 16, v32                             // 00000000644C: 20404090
	v_cmp_u_f32_e64 s[74:75], v97, v97                         // 000000006450: D048004A 0002C361
	v_bfe_u32 v226, v97, 16, 1                                 // 000000006458: D1C800E2 02052161
	v_add3_u32 v226, v97, v226, v229                           // 000000006460: D1FF00E2 0797C561
	v_cndmask_b32_e64 v33, v226, v228, s[74:75]                // 000000006468: D1000021 012BC9E2
	v_and_or_b32 v86, v33, v227, v32                           // 000000006470: D2010056 0483C721
	v_cmp_u_f32_e64 s[74:75], v98, v98                         // 000000006478: D048004A 0002C562
	v_bfe_u32 v226, v98, 16, 1                                 // 000000006480: D1C800E2 02052162
	v_add3_u32 v226, v98, v226, v229                           // 000000006488: D1FF00E2 0797C562
	v_cndmask_b32_e64 v32, v226, v228, s[74:75]                // 000000006490: D1000020 012BC9E2
	v_lshrrev_b32_e32 v32, 16, v32                             // 000000006498: 20404090
	v_cmp_u_f32_e64 s[74:75], v99, v99                         // 00000000649C: D048004A 0002C763
	v_bfe_u32 v226, v99, 16, 1                                 // 0000000064A4: D1C800E2 02052163
	v_add3_u32 v226, v99, v226, v229                           // 0000000064AC: D1FF00E2 0797C563
	v_cndmask_b32_e64 v33, v226, v228, s[74:75]                // 0000000064B4: D1000021 012BC9E2
	v_and_or_b32 v87, v33, v227, v32                           // 0000000064BC: D2010057 0483C721
	v_mfma_f32_16x16x16_bf16 v[190:193], v[138:139], v[170:171], v[190:193]// 0000000064C4: D3E100BE 06FB558A
	v_mov_b32_dpp v22, v82 quad_perm:[1,0,3,2] row_mask:0xf bank_mask:0xf// 0000000064CC: 7E2C02FA FF00B152
	v_perm_b32 v58, v22, v82, v21                              // 0000000064D4: D1ED003A 0456A516
	v_mov_b32_dpp v22, v83 quad_perm:[1,0,3,2] row_mask:0xf bank_mask:0xf// 0000000064DC: 7E2C02FA FF00B153
	v_perm_b32 v59, v22, v83, v21                              // 0000000064E4: D1ED003B 0456A716
	v_mov_b32_dpp v22, v84 quad_perm:[1,0,3,2] row_mask:0xf bank_mask:0xf// 0000000064EC: 7E2C02FA FF00B154
	v_perm_b32 v60, v22, v84, v21                              // 0000000064F4: D1ED003C 0456A916
	v_mfma_f32_16x16x16_bf16 v[194:197], v[132:133], v[172:173], v[194:197]// 0000000064FC: D3E100C2 070B5984
	v_mov_b32_dpp v22, v85 quad_perm:[1,0,3,2] row_mask:0xf bank_mask:0xf// 000000006504: 7E2C02FA FF00B155
	v_perm_b32 v61, v22, v85, v21                              // 00000000650C: D1ED003D 0456AB16
	v_mov_b32_dpp v22, v86 quad_perm:[1,0,3,2] row_mask:0xf bank_mask:0xf// 000000006514: 7E2C02FA FF00B156
	v_perm_b32 v62, v22, v86, v21                              // 00000000651C: D1ED003E 0456AD16
	v_mov_b32_dpp v22, v87 quad_perm:[1,0,3,2] row_mask:0xf bank_mask:0xf// 000000006524: 7E2C02FA FF00B157
	v_perm_b32 v63, v22, v87, v21                              // 00000000652C: D1ED003F 0456AF16
	v_mfma_f32_16x16x16_bf16 v[198:201], v[134:135], v[172:173], v[198:201]// 000000006534: D3E100C6 071B5986
	ds_write_b32 v24, v58 offset:24320                         // 00000000653C: D81A5F00 00003A18
	ds_write_b32 v24, v59 offset:24864                         // 000000006544: D81A6120 00003B18
	v_mfma_f32_16x16x16_bf16 v[202:205], v[136:137], v[172:173], v[202:205]// 00000000654C: D3E100CA 072B5988
	v_mfma_f32_16x16x16_bf16 v[206:209], v[138:139], v[172:173], v[206:209]// 000000006554: D3E100CE 073B598A
	ds_write_b32 v24, v60 offset:26624                         // 00000000655C: D81A6800 00003C18
	ds_write_b32 v24, v61 offset:27168                         // 000000006564: D81A6A20 00003D18
	ds_write_b32 v24, v62 offset:28928                         // 00000000656C: D81A7100 00003E18
	ds_write_b32 v24, v63 offset:29472                         // 000000006574: D81A7320 00003F18
	v_mfma_f32_16x16x16_bf16 v[210:213], v[132:133], v[174:175], v[210:213]// 00000000657C: D3E100D2 074B5D84
	v_mfma_f32_16x16x16_bf16 v[214:217], v[134:135], v[174:175], v[214:217]// 000000006584: D3E100D6 075B5D86
	ds_write_b32 v19, v100 offset:4352                         // 00000000658C: D81A1100 00006413
	ds_write_b32 v19, v101 offset:5408                         // 000000006594: D81A1520 00006513
	v_mfma_f32_16x16x16_bf16 v[218:221], v[136:137], v[174:175], v[218:221]// 00000000659C: D3E100DA 076B5D88
	s_nop 0                                                    // 0000000065A4: BF800000
	s_nop 0                                                    // 0000000065A8: BF800000
	s_nop 0                                                    // 0000000065AC: BF800000
	v_mfma_f32_16x16x16_bf16 v[222:225], v[138:139], v[174:175], v[222:225]// 0000000065B0: D3E100DE 077B5D8A
	ds_write_b32 v19, v102 offset:6528                         // 0000000065B8: D81A1980 00006613
	ds_write_b32 v19, v103 offset:7584                         // 0000000065C0: D81A1DA0 00006713
	s_barrier                                                  // 0000000065C8: BF8A0000
	v_mfma_f32_16x16x16_bf16 a[112:115], a[96:97], v[76:77], a[112:115]// 0000000065CC: D3E18070 0DC29960
	global_atomic_pk_add_bf16 v6, v156, s[32:33]               // 0000000065D4: DD488000 00209C06
	v_mfma_f32_16x16x16_bf16 a[116:119], a[98:99], v[76:77], a[116:119]// 0000000065DC: D3E18074 0DD29962
	ds_read_b32 v140, v27 offset:36096                         // 0000000065E4: D86C8D00 8C00001B
	ds_read_b32 v144, v27 offset:36160                         // 0000000065EC: D86C8D40 9000001B
	ds_read_b32 v176, v27 offset:36352                         // 0000000065F4: D86C8E00 B000001B
	ds_read_b32 v177, v27 offset:36416                         // 0000000065FC: D86C8E40 B100001B
	v_mfma_f32_16x16x16_bf16 a[120:123], a[100:101], v[76:77], a[120:123]// 000000006604: D3E18078 0DE29964
	s_waitcnt lgkmcnt(8)                                       // 00000000660C: BF8CC87F
	s_barrier                                                  // 000000006610: BF8A0000
	v_mfma_f32_16x16x16_bf16 a[124:127], a[102:103], v[76:77], a[124:127]// 000000006614: D3E1807C 0DF29966
	ds_read_b128 v[52:55], v23 offset:17408                    // 00000000661C: D9FE4400 34000017
	v_mfma_f32_16x16x16_bf16 a[128:131], a[96:97], v[78:79], a[128:131]// 000000006624: D3E18080 0E029D60
	v_mfma_f32_16x16x16_bf16 a[132:135], a[98:99], v[78:79], a[132:135]// 00000000662C: D3E18084 0E129D62
	ds_read_b128 v[56:59], v23 offset:18560                    // 000000006634: D9FE4880 38000017
	v_mfma_f32_16x16x16_bf16 a[136:139], a[100:101], v[78:79], a[136:139]// 00000000663C: D3E18088 0E229D64
	global_atomic_pk_add_bf16 v8, v157, s[32:33]               // 000000006644: DD488000 00209D08
	v_mfma_f32_16x16x16_bf16 a[140:143], a[102:103], v[78:79], a[140:143]// 00000000664C: D3E1808C 0E329D66
	ds_read_b128 v[60:63], v23 offset:19712                    // 000000006654: D9FE4D00 3C000017
	v_mfma_f32_16x16x16_bf16 a[144:147], a[96:97], v[80:81], a[144:147]// 00000000665C: D3E18090 0E42A160
	v_mfma_f32_16x16x16_bf16 a[148:151], a[98:99], v[80:81], a[148:151]// 000000006664: D3E18094 0E52A162
	ds_read_b128 v[64:67], v23 offset:20864                    // 00000000666C: D9FE5180 40000017
	v_mfma_f32_16x16x16_bf16 a[152:155], a[100:101], v[80:81], a[152:155]// 000000006674: D3E18098 0E62A164
	v_mfma_f32_16x16x16_bf16 a[156:159], a[102:103], v[80:81], a[156:159]// 00000000667C: D3E1809C 0E72A166
	ds_read_b128 v[68:71], v23 offset:22016                    // 000000006684: D9FE5600 44000017
	v_mfma_f32_16x16x16_bf16 a[112:115], a[104:105], v[82:83], a[112:115]// 00000000668C: D3E18070 0DC2A568
	global_atomic_pk_add_bf16 v10, v158, s[32:33]              // 000000006694: DD488000 00209E0A
	v_mfma_f32_16x16x16_bf16 a[116:119], a[106:107], v[82:83], a[116:119]// 00000000669C: D3E18074 0DD2A56A
	ds_read_b128 v[72:75], v23 offset:23168                    // 0000000066A4: D9FE5A80 48000017
	v_mfma_f32_16x16x16_bf16 a[120:123], a[108:109], v[82:83], a[120:123]// 0000000066AC: D3E18078 0DE2A56C
	v_mfma_f32_16x16x16_bf16 a[124:127], a[110:111], v[82:83], a[124:127]// 0000000066B4: D3E1807C 0DF2A56E
	ds_write_b32 v19, v104 offset:13056                        // 0000000066BC: D81A3300 00006813
	v_mfma_f32_16x16x16_bf16 a[128:131], a[104:105], v[84:85], a[128:131]// 0000000066C4: D3E18080 0E02A968
	v_mfma_f32_16x16x16_bf16 a[132:135], a[106:107], v[84:85], a[132:135]// 0000000066CC: D3E18084 0E12A96A
	ds_write_b32 v19, v105 offset:14112                        // 0000000066D4: D81A3720 00006913
	v_mfma_f32_16x16x16_bf16 a[136:139], a[108:109], v[84:85], a[136:139]// 0000000066DC: D3E18088 0E22A96C
	global_atomic_pk_add_bf16 v12, v159, s[32:33]              // 0000000066E4: DD488000 00209F0C
	v_mfma_f32_16x16x16_bf16 a[140:143], a[110:111], v[84:85], a[140:143]// 0000000066EC: D3E1808C 0E32A96E
	ds_write_b32 v19, v106 offset:15232                        // 0000000066F4: D81A3B80 00006A13
	v_mfma_f32_16x16x16_bf16 a[144:147], a[104:105], v[86:87], a[144:147]// 0000000066FC: D3E18090 0E42AD68
	v_mfma_f32_16x16x16_bf16 a[148:151], a[106:107], v[86:87], a[148:151]// 000000006704: D3E18094 0E52AD6A
	ds_write_b32 v19, v107 offset:16288                        // 00000000670C: D81A3FA0 00006B13
	v_mfma_f32_16x16x16_bf16 a[152:155], a[108:109], v[86:87], a[152:155]// 000000006714: D3E18098 0E62AD6C
	v_mfma_f32_16x16x16_bf16 a[156:159], a[110:111], v[86:87], a[156:159]// 00000000671C: D3E1809C 0E72AD6E
	s_waitcnt vmcnt(4) lgkmcnt(4)                              // 000000006724: BF8C0474
	s_barrier                                                  // 000000006728: BF8A0000
	v_mfma_f32_16x16x16_bf16 v[148:151], a[24:25], v[52:53], 0 // 00000000672C: D3E10094 0A026918
	v_mul_f32_e32 v140, s49, v140                              // 000000006734: 0B191831
	v_mul_f32_e32 v144, s49, v144                              // 000000006738: 0B212031
	s_nop 0                                                    // 00000000673C: BF800000
	v_mfma_f32_16x16x16_bf16 v[148:151], a[28:29], v[54:55], v[148:151]// 000000006740: D3E10094 0E526D1C
	ds_read_b128 a[96:99], v16                                 // 000000006748: DBFE0000 60000010
	buffer_load_dword v40, v1, s[8:11], 0 idxen                // 000000006750: E0502000 80022801
	v_mfma_f32_16x16x16_bf16 v[148:151], a[32:33], v[56:57], v[148:151]// 000000006758: D3E10094 0E527120
	v_mfma_f32_16x16x16_bf16 v[148:151], a[36:37], v[58:59], v[148:151]// 000000006760: D3E10094 0E527524
	ds_read_b128 a[100:103], v16 offset:512                    // 000000006768: DBFE0200 64000010
	buffer_load_dword v41, v2, s[8:11], 0 idxen                // 000000006770: E0502000 80022902
	v_mfma_f32_16x16x16_bf16 v[148:151], a[40:41], v[60:61], v[148:151]// 000000006778: D3E10094 0E527928
	v_perm_b32 v100, v37, v36, s63                             // 000000006780: D1ED0064 00FE4925
	v_perm_b32 v101, v37, v36, s64                             // 000000006788: D1ED0065 01024925
	v_mfma_f32_16x16x16_bf16 v[148:151], a[44:45], v[62:63], v[148:151]// 000000006790: D3E10094 0E527D2C
	ds_read_b128 a[104:107], v16 offset:2176                   // 000000006798: DBFE0880 68000010
	buffer_load_dword v42, v3, s[8:11], 0 idxen                // 0000000067A0: E0502000 80022A03
	v_mfma_f32_16x16x16_bf16 v[148:151], a[48:49], v[64:65], v[148:151]// 0000000067A8: D3E10094 0E528130
	v_perm_b32 v102, v39, v38, s63                             // 0000000067B0: D1ED0066 00FE4D27
	v_perm_b32 v103, v39, v38, s64                             // 0000000067B8: D1ED0067 01024D27
	v_mfma_f32_16x16x16_bf16 v[148:151], a[52:53], v[66:67], v[148:151]// 0000000067C0: D3E10094 0E528534
	ds_read_b128 a[108:111], v16 offset:2688                   // 0000000067C8: DBFE0A80 6C000010
	buffer_load_dword v43, v4, s[8:11], 0 idxen                // 0000000067D0: E0502000 80022B04
	v_mfma_f32_16x16x16_bf16 v[148:151], a[56:57], v[68:69], v[148:151]// 0000000067D8: D3E10094 0E528938
	v_perm_b32 v104, v45, v44, s63                             // 0000000067E0: D1ED0068 00FE592D
	v_perm_b32 v105, v45, v44, s64                             // 0000000067E8: D1ED0069 0102592D
	v_mfma_f32_16x16x16_bf16 v[148:151], a[60:61], v[70:71], v[148:151]// 0000000067F0: D3E10094 0E528D3C
	ds_read_b128 v[108:111], v16 offset:8704                   // 0000000067F8: D9FE2200 6C000010
	buffer_load_dword v48, v1, s[20:23], 0 idxen               // 000000006800: E0502000 80053001
	v_mfma_f32_16x16x16_bf16 v[148:151], a[64:65], v[72:73], v[148:151]// 000000006808: D3E10094 0E529140
	v_perm_b32 v106, v47, v46, s63                             // 000000006810: D1ED006A 00FE5D2F
	v_perm_b32 v107, v47, v46, s64                             // 000000006818: D1ED006B 01025D2F
	v_mfma_f32_16x16x16_bf16 v[148:151], a[68:69], v[74:75], v[148:151]// 000000006820: D3E10094 0E529544
	ds_read_b128 v[112:115], v16 offset:9216                   // 000000006828: D9FE2400 70000010
	buffer_load_dword v49, v2, s[20:23], 0 idxen               // 000000006830: E0502000 80053102
	v_mfma_f32_16x16x16_bf16 v[152:155], a[26:27], v[52:53], 0 // 000000006838: D3E10098 0A02691A
	v_mov_b32_dpp v143, v140 quad_perm:[3,3,3,3] row_mask:0xf bank_mask:0xf// 000000006840: 7F1E02FA FF00FF8C
	v_mov_b32_dpp v142, v140 quad_perm:[2,2,2,2] row_mask:0xf bank_mask:0xf// 000000006848: 7F1C02FA FF00AA8C
	v_mov_b32_dpp v141, v140 quad_perm:[1,1,1,1] row_mask:0xf bank_mask:0xf// 000000006850: 7F1A02FA FF00558C
	v_mov_b32_dpp v140, v140 quad_perm:[0,0,0,0] row_mask:0xf bank_mask:0xf// 000000006858: 7F1802FA FF00008C
	v_mfma_f32_16x16x16_bf16 v[152:155], a[30:31], v[54:55], v[152:155]// 000000006860: D3E10098 0E626D1E
	ds_read_b128 v[116:119], v16 offset:10880                  // 000000006868: D9FE2A80 74000010
	buffer_load_dword v50, v3, s[20:23], 0 idxen               // 000000006870: E0502000 80053203
	v_mfma_f32_16x16x16_bf16 v[152:155], a[34:35], v[56:57], v[152:155]// 000000006878: D3E10098 0E627122
	v_mov_b32_dpp v147, v144 quad_perm:[3,3,3,3] row_mask:0xf bank_mask:0xf// 000000006880: 7F2602FA FF00FF90
	v_mov_b32_dpp v146, v144 quad_perm:[2,2,2,2] row_mask:0xf bank_mask:0xf// 000000006888: 7F2402FA FF00AA90
	v_mov_b32_dpp v145, v144 quad_perm:[1,1,1,1] row_mask:0xf bank_mask:0xf// 000000006890: 7F2202FA FF005590
	v_mov_b32_dpp v144, v144 quad_perm:[0,0,0,0] row_mask:0xf bank_mask:0xf// 000000006898: 7F2002FA FF000090
	s_add_u32 s60, 0x80, s59                                   // 0000000068A0: 803C3BFF 00000080
	v_mfma_f32_16x16x16_bf16 v[152:155], a[38:39], v[58:59], v[152:155]// 0000000068A8: D3E10098 0E627526
	ds_read_b128 v[120:123], v16 offset:11392                  // 0000000068B0: D9FE2C80 78000010
	buffer_load_dword v51, v4, s[20:23], 0 idxen               // 0000000068B8: E0502000 80053304
	v_mfma_f32_16x16x16_bf16 v[152:155], a[42:43], v[60:61], v[152:155]// 0000000068C0: D3E10098 0E62792A
	s_cmp_lt_u32 s60, s58                                      // 0000000068C8: BF0A3A3C
	s_cselect_b32 s68, s68, 0                                  // 0000000068CC: 85448044
	s_cselect_b32 s69, s69, 0                                  // 0000000068D0: 85458045
	v_mfma_f32_16x16x16_bf16 v[152:155], a[46:47], v[62:63], v[152:155]// 0000000068D4: D3E10098 0E627D2E
	buffer_load_dword v15, s[24:27], 0 idxen lds               // 0000000068DC: E0512000 8006000F
	v_mfma_f32_16x16x16_bf16 v[152:155], a[50:51], v[64:65], v[152:155]// 0000000068E4: D3E10098 0E628132
	s_add_u32 s8, s68, s8                                      // 0000000068EC: 80080844
	s_addc_u32 s9, 0, s9                                       // 0000000068F0: 82090980
	v_mfma_f32_16x16x16_bf16 v[152:155], a[54:55], v[66:67], v[152:155]// 0000000068F4: D3E10098 0E628536
	s_add_u32 s20, s68, s20                                    // 0000000068FC: 80141444
	s_addc_u32 s21, 0, s21                                     // 000000006900: 82151580
	v_mfma_f32_16x16x16_bf16 v[152:155], a[58:59], v[68:69], v[152:155]// 000000006904: D3E10098 0E62893A
	s_mov_b32 m0, s76                                          // 00000000690C: BEFC004C
	v_add_u32_e32 v15, s69, v15                                // 000000006910: 681E1E45
	v_mfma_f32_16x16x16_bf16 v[152:155], a[62:63], v[70:71], v[152:155]// 000000006914: D3E10098 0E628D3E
	s_cmp_ge_u32 s59, 32                                       // 00000000691C: BF09A03B
	s_cselect_b32 s66, s67, s66                                // 000000006920: 85424243
	v_mfma_f32_16x16x16_bf16 v[152:155], a[66:67], v[72:73], v[152:155]// 000000006924: D3E10098 0E629142
	s_addk_i32 s59, 0x20                                       // 00000000692C: B73B0020
	s_nop 0                                                    // 000000006930: BF800000
	s_cmp_lt_i32 s59, s58                                      // 000000006934: BF043A3B
	v_mfma_f32_16x16x16_bf16 v[152:155], a[70:71], v[74:75], v[152:155]// 000000006938: D3E10098 0E629546
	s_cbranch_scc0 label_0F0D                                  // 000000006940: BF8404BC
	s_waitcnt lgkmcnt(4)                                       // 000000006944: BF8CC47F
	s_barrier                                                  // 000000006948: BF8A0000
	v_mfma_f32_16x16x16_bf16 v[52:55], a[96:97], a[0:1], 0     // 00000000694C: D3E10034 1A020160
	ds_write_b32 v17, v44 offset:8704                          // 000000006954: D81A2200 00002C11
	ds_write_b32 v17, v45 offset:9760                          // 00000000695C: D81A2620 00002D11
	v_mfma_f32_16x16x16_bf16 v[52:55], a[98:99], a[2:3], v[52:55]// 000000006964: D3E10034 1CD20562
	v_mul_f32_e32 v148, s48, v148                              // 00000000696C: 0B292830
	v_mul_f32_e32 v149, s48, v149                              // 000000006970: 0B2B2A30
	v_mfma_f32_16x16x16_bf16 v[52:55], a[100:101], a[4:5], v[52:55]// 000000006974: D3E10034 1CD20964
	ds_write_b32 v17, v46 offset:10880                         // 00000000697C: D81A2A80 00002E11
	ds_write_b32 v17, v47 offset:11936                         // 000000006984: D81A2EA0 00002F11
	v_mfma_f32_16x16x16_bf16 v[52:55], a[102:103], a[6:7], v[52:55]// 00000000698C: D3E10034 1CD20D66
	v_mul_f32_e32 v150, s48, v150                              // 000000006994: 0B2D2C30
	v_mul_f32_e32 v151, s48, v151                              // 000000006998: 0B2F2E30
	v_mfma_f32_16x16x16_bf16 v[56:59], a[96:97], a[8:9], 0     // 00000000699C: D3E10038 1A021160
	v_mul_f32_e32 v152, s48, v152                              // 0000000069A4: 0B313030
	v_mul_f32_e32 v153, s48, v153                              // 0000000069A8: 0B333230
	v_mfma_f32_16x16x16_bf16 v[56:59], a[98:99], a[10:11], v[56:59]// 0000000069AC: D3E10038 1CE21562
	v_mul_f32_e32 v154, s48, v154                              // 0000000069B4: 0B353430
	v_mul_f32_e32 v155, s48, v155                              // 0000000069B8: 0B373630
	v_mfma_f32_16x16x16_bf16 v[56:59], a[100:101], a[12:13], v[56:59]// 0000000069BC: D3E10038 1CE21964
	v_cmp_u_f32_e64 s[74:75], v148, v148                       // 0000000069C4: D048004A 00032994
	v_bfe_u32 v226, v148, 16, 1                                // 0000000069CC: D1C800E2 02052194
	v_add3_u32 v226, v148, v226, v229                          // 0000000069D4: D1FF00E2 0797C594
	v_cndmask_b32_e64 v32, v226, v228, s[74:75]                // 0000000069DC: D1000020 012BC9E2
	v_lshrrev_b32_e32 v32, 16, v32                             // 0000000069E4: 20404090
	v_cmp_u_f32_e64 s[74:75], v149, v149                       // 0000000069E8: D048004A 00032B95
	v_bfe_u32 v226, v149, 16, 1                                // 0000000069F0: D1C800E2 02052195
	v_add3_u32 v226, v149, v226, v229                          // 0000000069F8: D1FF00E2 0797C595
	v_cndmask_b32_e64 v33, v226, v228, s[74:75]                // 000000006A00: D1000021 012BC9E2
	v_and_or_b32 v148, v33, v227, v32                          // 000000006A08: D2010094 0483C721
	v_cmp_u_f32_e64 s[74:75], v150, v150                       // 000000006A10: D048004A 00032D96
	v_bfe_u32 v226, v150, 16, 1                                // 000000006A18: D1C800E2 02052196
	v_add3_u32 v226, v150, v226, v229                          // 000000006A20: D1FF00E2 0797C596
	v_cndmask_b32_e64 v32, v226, v228, s[74:75]                // 000000006A28: D1000020 012BC9E2
	v_lshrrev_b32_e32 v32, 16, v32                             // 000000006A30: 20404090
	v_cmp_u_f32_e64 s[74:75], v151, v151                       // 000000006A34: D048004A 00032F97
	v_bfe_u32 v226, v151, 16, 1                                // 000000006A3C: D1C800E2 02052197
	v_add3_u32 v226, v151, v226, v229                          // 000000006A44: D1FF00E2 0797C597
	v_cndmask_b32_e64 v33, v226, v228, s[74:75]                // 000000006A4C: D1000021 012BC9E2
	v_and_or_b32 v149, v33, v227, v32                          // 000000006A54: D2010095 0483C721
	v_mfma_f32_16x16x16_bf16 v[56:59], a[102:103], a[14:15], v[56:59]// 000000006A5C: D3E10038 1CE21D66
	v_cmp_u_f32_e64 s[74:75], v152, v152                       // 000000006A64: D048004A 00033198
	v_bfe_u32 v226, v152, 16, 1                                // 000000006A6C: D1C800E2 02052198
	v_add3_u32 v226, v152, v226, v229                          // 000000006A74: D1FF00E2 0797C598
	v_cndmask_b32_e64 v32, v226, v228, s[74:75]                // 000000006A7C: D1000020 012BC9E2
	v_lshrrev_b32_e32 v32, 16, v32                             // 000000006A84: 20404090
	v_cmp_u_f32_e64 s[74:75], v153, v153                       // 000000006A88: D048004A 00033399
	v_bfe_u32 v226, v153, 16, 1                                // 000000006A90: D1C800E2 02052199
	v_add3_u32 v226, v153, v226, v229                          // 000000006A98: D1FF00E2 0797C599
	v_cndmask_b32_e64 v33, v226, v228, s[74:75]                // 000000006AA0: D1000021 012BC9E2
	v_and_or_b32 v150, v33, v227, v32                          // 000000006AA8: D2010096 0483C721
	v_cmp_u_f32_e64 s[74:75], v154, v154                       // 000000006AB0: D048004A 0003359A
	v_bfe_u32 v226, v154, 16, 1                                // 000000006AB8: D1C800E2 0205219A
	v_add3_u32 v226, v154, v226, v229                          // 000000006AC0: D1FF00E2 0797C59A
	v_cndmask_b32_e64 v32, v226, v228, s[74:75]                // 000000006AC8: D1000020 012BC9E2
	v_lshrrev_b32_e32 v32, 16, v32                             // 000000006AD0: 20404090
	v_cmp_u_f32_e64 s[74:75], v155, v155                       // 000000006AD4: D048004A 0003379B
	v_bfe_u32 v226, v155, 16, 1                                // 000000006ADC: D1C800E2 0205219B
	v_add3_u32 v226, v155, v226, v229                          // 000000006AE4: D1FF00E2 0797C59B
	v_cndmask_b32_e64 v33, v226, v228, s[74:75]                // 000000006AEC: D1000021 012BC9E2
	v_and_or_b32 v151, v33, v227, v32                          // 000000006AF4: D2010097 0483C721
	v_mfma_f32_16x16x16_bf16 v[60:63], a[96:97], a[16:17], 0   // 000000006AFC: D3E1003C 1A022160
	ds_write_b64 v26, v[148:149] offset:31232                  // 000000006B04: D89A7A00 0000941A
	v_mfma_f32_16x16x16_bf16 v[60:63], a[98:99], a[18:19], v[60:63]// 000000006B0C: D3E1003C 1CF22562
	v_mfma_f32_16x16x16_bf16 v[60:63], a[100:101], a[20:21], v[60:63]// 000000006B14: D3E1003C 1CF22964
	ds_write_b64 v26, v[150:151] offset:31776                  // 000000006B1C: D89A7C20 0000961A
	v_mfma_f32_16x16x16_bf16 v[60:63], a[102:103], a[22:23], v[60:63]// 000000006B24: D3E1003C 1CF22D66
	v_mfma_f32_16x16x16_bf16 v[64:67], a[104:105], a[0:1], 0   // 000000006B2C: D3E10040 1A020168
	ds_read_b128 v[124:127], v18 offset:13056                  // 000000006B34: D9FE3300 7C000012
	ds_write_b32 v17, v36                                      // 000000006B3C: D81A0000 00002411
	v_mfma_f32_16x16x16_bf16 v[64:67], a[106:107], a[2:3], v[64:67]// 000000006B44: D3E10040 1D02056A
	v_mfma_f32_16x16x16_bf16 v[64:67], a[108:109], a[4:5], v[64:67]// 000000006B4C: D3E10040 1D02096C
	v_mfma_f32_16x16x16_bf16 v[64:67], a[110:111], a[6:7], v[64:67]// 000000006B54: D3E10040 1D020D6E
	ds_read_b128 v[128:131], v18 offset:13568                  // 000000006B5C: D9FE3500 80000012
	ds_write_b32 v17, v37 offset:1056                          // 000000006B64: D81A0420 00002511
	v_mfma_f32_16x16x16_bf16 v[68:71], a[104:105], a[8:9], 0   // 000000006B6C: D3E10044 1A021168
	v_mfma_f32_16x16x16_bf16 v[68:71], a[106:107], a[10:11], v[68:71]// 000000006B74: D3E10044 1D12156A
	v_mfma_f32_16x16x16_bf16 v[68:71], a[108:109], a[12:13], v[68:71]// 000000006B7C: D3E10044 1D12196C
	ds_read_b128 v[132:135], v18 offset:15232                  // 000000006B84: D9FE3B80 84000012
	ds_write_b32 v17, v38 offset:2176                          // 000000006B8C: D81A0880 00002611
	v_mfma_f32_16x16x16_bf16 v[68:71], a[110:111], a[14:15], v[68:71]// 000000006B94: D3E10044 1D121D6E
	v_mfma_f32_16x16x16_bf16 v[72:75], a[104:105], a[16:17], 0 // 000000006B9C: D3E10048 1A022168
	v_mfma_f32_16x16x16_bf16 v[72:75], a[106:107], a[18:19], v[72:75]// 000000006BA4: D3E10048 1D22256A
	ds_read_b128 v[136:139], v18 offset:15744                  // 000000006BAC: D9FE3D80 88000012
	ds_write_b32 v17, v39 offset:3232                          // 000000006BB4: D81A0CA0 00002711
	v_mfma_f32_16x16x16_bf16 v[72:75], a[108:109], a[20:21], v[72:75]// 000000006BBC: D3E10048 1D22296C
	v_mfma_f32_16x16x16_bf16 v[72:75], a[110:111], a[22:23], v[72:75]// 000000006BC4: D3E10048 1D222D6E
	s_cmp_lt_i32 s73, 3                                        // 000000006BCC: BF048349
	s_cbranch_scc0 label_0B0C                                  // 000000006BD0: BF840017
	s_cmp_eq_i32 s73, 1                                        // 000000006BD4: BF008149
	s_cbranch_scc1 label_0AFA                                  // 000000006BD8: BF850003
	s_cmp_eq_i32 s73, 2                                        // 000000006BDC: BF008249
	s_cbranch_scc1 label_0B03                                  // 000000006BE0: BF85000A
	s_branch label_0B0C                                        // 000000006BE4: BF820012

0000000000006be8 <label_0AFA>:
	v_mov_b32_e32 v56, v230                                    // 000000006BE8: 7E7003E6
	v_mov_b32_e32 v68, v230                                    // 000000006BEC: 7E8803E6
	v_mov_b32_e32 v57, v230                                    // 000000006BF0: 7E7203E6
	v_mov_b32_e32 v69, v230                                    // 000000006BF4: 7E8A03E6
	v_mov_b32_e32 v58, v230                                    // 000000006BF8: 7E7403E6
	v_mov_b32_e32 v70, v230                                    // 000000006BFC: 7E8C03E6
	v_mov_b32_e32 v59, v230                                    // 000000006C00: 7E7603E6
	v_mov_b32_e32 v71, v230                                    // 000000006C04: 7E8E03E6
	s_branch label_0B03                                        // 000000006C08: BF820000

0000000000006c0c <label_0B03>:
	v_mov_b32_e32 v60, v230                                    // 000000006C0C: 7E7803E6
	v_mov_b32_e32 v72, v230                                    // 000000006C10: 7E9003E6
	v_mov_b32_e32 v61, v230                                    // 000000006C14: 7E7A03E6
	v_mov_b32_e32 v73, v230                                    // 000000006C18: 7E9203E6
	v_mov_b32_e32 v62, v230                                    // 000000006C1C: 7E7C03E6
	v_mov_b32_e32 v74, v230                                    // 000000006C20: 7E9403E6
	v_mov_b32_e32 v63, v230                                    // 000000006C24: 7E7E03E6
	v_mov_b32_e32 v75, v230                                    // 000000006C28: 7E9603E6
	s_branch label_0B0C                                        // 000000006C2C: BF820000

0000000000006c30 <label_0B0C>:
	s_waitcnt lgkmcnt(8)                                       // 000000006C30: BF8CC87F
	s_barrier                                                  // 000000006C34: BF8A0000
	v_mfma_f32_16x16x16_bf16 v[76:79], v[108:109], a[72:73], 0 // 000000006C38: D3E1004C 1202916C
	ds_read_b128 a[96:99], v18 offset:4352                     // 000000006C40: DBFE1100 60000012
	ds_read_b128 a[100:103], v18 offset:4864                   // 000000006C48: DBFE1300 64000012
	v_mfma_f32_16x16x16_bf16 v[76:79], v[110:111], a[74:75], v[76:79]// 000000006C50: D3E1004C 1532956E
	v_fma_f32 v52, v52, s57, -v140                             // 000000006C58: D1CB0034 86307334
	v_fma_f32 v53, v53, s57, -v141                             // 000000006C60: D1CB0035 86347335
	v_fma_f32 v54, v54, s57, -v142                             // 000000006C68: D1CB0036 86387336
	v_fma_f32 v55, v55, s57, -v143                             // 000000006C70: D1CB0037 863C7337
	v_fma_f32 v56, v56, s57, -v140                             // 000000006C78: D1CB0038 86307338
	v_fma_f32 v57, v57, s57, -v141                             // 000000006C80: D1CB0039 86347339
	v_mfma_f32_16x16x16_bf16 v[76:79], v[112:113], a[76:77], v[76:79]// 000000006C88: D3E1004C 15329970
	v_fma_f32 v58, v58, s57, -v142                             // 000000006C90: D1CB003A 8638733A
	v_fma_f32 v59, v59, s57, -v143                             // 000000006C98: D1CB003B 863C733B
	v_fma_f32 v60, v60, s57, -v140                             // 000000006CA0: D1CB003C 8630733C
	v_fma_f32 v61, v61, s57, -v141                             // 000000006CA8: D1CB003D 8634733D
	v_fma_f32 v62, v62, s57, -v142                             // 000000006CB0: D1CB003E 8638733E
	v_fma_f32 v63, v63, s57, -v143                             // 000000006CB8: D1CB003F 863C733F
	v_mfma_f32_16x16x16_bf16 v[76:79], v[114:115], a[78:79], v[76:79]// 000000006CC0: D3E1004C 15329D72
	v_fma_f32 v64, v64, s57, -v144                             // 000000006CC8: D1CB0040 86407340
	v_fma_f32 v65, v65, s57, -v145                             // 000000006CD0: D1CB0041 86447341
	v_fma_f32 v66, v66, s57, -v146                             // 000000006CD8: D1CB0042 86487342
	v_fma_f32 v67, v67, s57, -v147                             // 000000006CE0: D1CB0043 864C7343
	v_fma_f32 v68, v68, s57, -v144                             // 000000006CE8: D1CB0044 86407344
	v_fma_f32 v69, v69, s57, -v145                             // 000000006CF0: D1CB0045 86447345
	v_mfma_f32_16x16x16_bf16 v[80:83], v[108:109], a[80:81], 0 // 000000006CF8: D3E10050 1202A16C
	ds_read_b128 a[104:107], v18 offset:6528                   // 000000006D00: DBFE1980 68000012
	ds_read_b128 a[108:111], v18 offset:7040                   // 000000006D08: DBFE1B80 6C000012
	v_mfma_f32_16x16x16_bf16 v[80:83], v[110:111], a[82:83], v[80:83]// 000000006D10: D3E10050 1542A56E
	v_fma_f32 v70, v70, s57, -v146                             // 000000006D18: D1CB0046 86487346
	v_fma_f32 v71, v71, s57, -v147                             // 000000006D20: D1CB0047 864C7347
	v_fma_f32 v72, v72, s57, -v144                             // 000000006D28: D1CB0048 86407348
	v_fma_f32 v73, v73, s57, -v145                             // 000000006D30: D1CB0049 86447349
	v_fma_f32 v74, v74, s57, -v146                             // 000000006D38: D1CB004A 8648734A
	v_fma_f32 v75, v75, s57, -v147                             // 000000006D40: D1CB004B 864C734B
	v_mfma_f32_16x16x16_bf16 v[80:83], v[112:113], a[84:85], v[80:83]// 000000006D48: D3E10050 1542A970
	v_exp_f32_e32 v52, v52                                     // 000000006D50: 7E684134
	v_exp_f32_e32 v53, v53                                     // 000000006D54: 7E6A4135
	v_mfma_f32_16x16x16_bf16 v[80:83], v[114:115], a[86:87], v[80:83]// 000000006D58: D3E10050 1542AD72
	v_exp_f32_e32 v54, v54                                     // 000000006D60: 7E6C4136
	v_exp_f32_e32 v55, v55                                     // 000000006D64: 7E6E4137
	v_mfma_f32_16x16x16_bf16 v[84:87], v[108:109], a[88:89], 0 // 000000006D68: D3E10054 1202B16C
	ds_read_b32 v156, v25 offset:31232                         // 000000006D70: D86C7A00 9C000019
	ds_read_b32 v157, v25 offset:31248                         // 000000006D78: D86C7A10 9D000019
	v_mfma_f32_16x16x16_bf16 v[84:87], v[110:111], a[90:91], v[84:87]// 000000006D80: D3E10054 1552B56E
	v_exp_f32_e32 v56, v56                                     // 000000006D88: 7E704138
	v_exp_f32_e32 v57, v57                                     // 000000006D8C: 7E724139
	v_mfma_f32_16x16x16_bf16 v[84:87], v[112:113], a[92:93], v[84:87]// 000000006D90: D3E10054 1552B970
	ds_read_b32 v158, v25 offset:31264                         // 000000006D98: D86C7A20 9E000019
	ds_read_b32 v159, v25 offset:31280                         // 000000006DA0: D86C7A30 9F000019
	v_mfma_f32_16x16x16_bf16 v[84:87], v[114:115], a[94:95], v[84:87]// 000000006DA8: D3E10054 1552BD72
	v_exp_f32_e32 v58, v58                                     // 000000006DB0: 7E74413A
	v_exp_f32_e32 v59, v59                                     // 000000006DB4: 7E76413B
	v_mfma_f32_16x16x16_bf16 v[88:91], v[116:117], a[72:73], 0 // 000000006DB8: D3E10058 12029174
	v_exp_f32_e32 v60, v60                                     // 000000006DC0: 7E78413C
	v_exp_f32_e32 v61, v61                                     // 000000006DC4: 7E7A413D
	v_mfma_f32_16x16x16_bf16 v[88:91], v[118:119], a[74:75], v[88:91]// 000000006DC8: D3E10058 15629576
	v_exp_f32_e32 v62, v62                                     // 000000006DD0: 7E7C413E
	v_exp_f32_e32 v63, v63                                     // 000000006DD4: 7E7E413F
	v_mfma_f32_16x16x16_bf16 v[88:91], v[120:121], a[76:77], v[88:91]// 000000006DD8: D3E10058 15629978
	v_exp_f32_e32 v64, v64                                     // 000000006DE0: 7E804140
	v_exp_f32_e32 v65, v65                                     // 000000006DE4: 7E824141
	v_mfma_f32_16x16x16_bf16 v[88:91], v[122:123], a[78:79], v[88:91]// 000000006DE8: D3E10058 15629D7A
	v_exp_f32_e32 v66, v66                                     // 000000006DF0: 7E844142
	v_exp_f32_e32 v67, v67                                     // 000000006DF4: 7E864143
	v_mfma_f32_16x16x16_bf16 v[92:95], v[116:117], a[80:81], 0 // 000000006DF8: D3E1005C 1202A174
	v_exp_f32_e32 v68, v68                                     // 000000006E00: 7E884144
	v_exp_f32_e32 v69, v69                                     // 000000006E04: 7E8A4145
	v_mfma_f32_16x16x16_bf16 v[92:95], v[118:119], a[82:83], v[92:95]// 000000006E08: D3E1005C 1572A576
	v_exp_f32_e32 v70, v70                                     // 000000006E10: 7E8C4146
	v_exp_f32_e32 v71, v71                                     // 000000006E14: 7E8E4147
	v_mfma_f32_16x16x16_bf16 v[92:95], v[120:121], a[84:85], v[92:95]// 000000006E18: D3E1005C 1572A978
	v_exp_f32_e32 v72, v72                                     // 000000006E20: 7E904148
	v_exp_f32_e32 v73, v73                                     // 000000006E24: 7E924149
	v_mfma_f32_16x16x16_bf16 v[92:95], v[122:123], a[86:87], v[92:95]// 000000006E28: D3E1005C 1572AD7A
	v_exp_f32_e32 v74, v74                                     // 000000006E30: 7E94414A
	v_exp_f32_e32 v75, v75                                     // 000000006E34: 7E96414B
	v_mfma_f32_16x16x16_bf16 v[96:99], v[116:117], a[88:89], 0 // 000000006E38: D3E10060 1202B174
	v_cmp_u_f32_e64 s[74:75], v52, v52                         // 000000006E40: D048004A 00026934
	v_bfe_u32 v226, v52, 16, 1                                 // 000000006E48: D1C800E2 02052134
	v_add3_u32 v226, v52, v226, v229                           // 000000006E50: D1FF00E2 0797C534
	v_cndmask_b32_e64 v32, v226, v228, s[74:75]                // 000000006E58: D1000020 012BC9E2
	v_lshrrev_b32_e32 v32, 16, v32                             // 000000006E60: 20404090
	v_cmp_u_f32_e64 s[74:75], v53, v53                         // 000000006E64: D048004A 00026B35
	v_bfe_u32 v226, v53, 16, 1                                 // 000000006E6C: D1C800E2 02052135
	v_add3_u32 v226, v53, v226, v229                           // 000000006E74: D1FF00E2 0797C535
	v_cndmask_b32_e64 v33, v226, v228, s[74:75]                // 000000006E7C: D1000021 012BC9E2
	v_and_or_b32 v164, v33, v227, v32                          // 000000006E84: D20100A4 0483C721
	v_cmp_u_f32_e64 s[74:75], v54, v54                         // 000000006E8C: D048004A 00026D36
	v_bfe_u32 v226, v54, 16, 1                                 // 000000006E94: D1C800E2 02052136
	v_add3_u32 v226, v54, v226, v229                           // 000000006E9C: D1FF00E2 0797C536
	v_cndmask_b32_e64 v32, v226, v228, s[74:75]                // 000000006EA4: D1000020 012BC9E2
	v_lshrrev_b32_e32 v32, 16, v32                             // 000000006EAC: 20404090
	v_cmp_u_f32_e64 s[74:75], v55, v55                         // 000000006EB0: D048004A 00026F37
	v_bfe_u32 v226, v55, 16, 1                                 // 000000006EB8: D1C800E2 02052137
	v_add3_u32 v226, v55, v226, v229                           // 000000006EC0: D1FF00E2 0797C537
	v_cndmask_b32_e64 v33, v226, v228, s[74:75]                // 000000006EC8: D1000021 012BC9E2
	v_and_or_b32 v165, v33, v227, v32                          // 000000006ED0: D20100A5 0483C721
	v_cmp_u_f32_e64 s[74:75], v56, v56                         // 000000006ED8: D048004A 00027138
	v_bfe_u32 v226, v56, 16, 1                                 // 000000006EE0: D1C800E2 02052138
	v_add3_u32 v226, v56, v226, v229                           // 000000006EE8: D1FF00E2 0797C538
	v_cndmask_b32_e64 v32, v226, v228, s[74:75]                // 000000006EF0: D1000020 012BC9E2
	v_lshrrev_b32_e32 v32, 16, v32                             // 000000006EF8: 20404090
	v_cmp_u_f32_e64 s[74:75], v57, v57                         // 000000006EFC: D048004A 00027339
	v_bfe_u32 v226, v57, 16, 1                                 // 000000006F04: D1C800E2 02052139
	v_add3_u32 v226, v57, v226, v229                           // 000000006F0C: D1FF00E2 0797C539
	v_cndmask_b32_e64 v33, v226, v228, s[74:75]                // 000000006F14: D1000021 012BC9E2
	v_and_or_b32 v166, v33, v227, v32                          // 000000006F1C: D20100A6 0483C721
	v_cmp_u_f32_e64 s[74:75], v58, v58                         // 000000006F24: D048004A 0002753A
	v_bfe_u32 v226, v58, 16, 1                                 // 000000006F2C: D1C800E2 0205213A
	v_add3_u32 v226, v58, v226, v229                           // 000000006F34: D1FF00E2 0797C53A
	v_cndmask_b32_e64 v32, v226, v228, s[74:75]                // 000000006F3C: D1000020 012BC9E2
	v_lshrrev_b32_e32 v32, 16, v32                             // 000000006F44: 20404090
	v_cmp_u_f32_e64 s[74:75], v59, v59                         // 000000006F48: D048004A 0002773B
	v_bfe_u32 v226, v59, 16, 1                                 // 000000006F50: D1C800E2 0205213B
	v_add3_u32 v226, v59, v226, v229                           // 000000006F58: D1FF00E2 0797C53B
	v_cndmask_b32_e64 v33, v226, v228, s[74:75]                // 000000006F60: D1000021 012BC9E2
	v_and_or_b32 v167, v33, v227, v32                          // 000000006F68: D20100A7 0483C721
	v_cmp_u_f32_e64 s[74:75], v60, v60                         // 000000006F70: D048004A 0002793C
	v_bfe_u32 v226, v60, 16, 1                                 // 000000006F78: D1C800E2 0205213C
	v_add3_u32 v226, v60, v226, v229                           // 000000006F80: D1FF00E2 0797C53C
	v_cndmask_b32_e64 v32, v226, v228, s[74:75]                // 000000006F88: D1000020 012BC9E2
	v_lshrrev_b32_e32 v32, 16, v32                             // 000000006F90: 20404090
	v_cmp_u_f32_e64 s[74:75], v61, v61                         // 000000006F94: D048004A 00027B3D
	v_bfe_u32 v226, v61, 16, 1                                 // 000000006F9C: D1C800E2 0205213D
	v_add3_u32 v226, v61, v226, v229                           // 000000006FA4: D1FF00E2 0797C53D
	v_cndmask_b32_e64 v33, v226, v228, s[74:75]                // 000000006FAC: D1000021 012BC9E2
	v_and_or_b32 v168, v33, v227, v32                          // 000000006FB4: D20100A8 0483C721
	v_cmp_u_f32_e64 s[74:75], v62, v62                         // 000000006FBC: D048004A 00027D3E
	v_bfe_u32 v226, v62, 16, 1                                 // 000000006FC4: D1C800E2 0205213E
	v_add3_u32 v226, v62, v226, v229                           // 000000006FCC: D1FF00E2 0797C53E
	v_cndmask_b32_e64 v32, v226, v228, s[74:75]                // 000000006FD4: D1000020 012BC9E2
	v_lshrrev_b32_e32 v32, 16, v32                             // 000000006FDC: 20404090
	v_cmp_u_f32_e64 s[74:75], v63, v63                         // 000000006FE0: D048004A 00027F3F
	v_bfe_u32 v226, v63, 16, 1                                 // 000000006FE8: D1C800E2 0205213F
	v_add3_u32 v226, v63, v226, v229                           // 000000006FF0: D1FF00E2 0797C53F
	v_cndmask_b32_e64 v33, v226, v228, s[74:75]                // 000000006FF8: D1000021 012BC9E2
	v_and_or_b32 v169, v33, v227, v32                          // 000000007000: D20100A9 0483C721
	v_mfma_f32_16x16x16_bf16 v[96:99], v[118:119], a[90:91], v[96:99]// 000000007008: D3E10060 1582B576
	v_cmp_u_f32_e64 s[74:75], v64, v64                         // 000000007010: D048004A 00028140
	v_bfe_u32 v226, v64, 16, 1                                 // 000000007018: D1C800E2 02052140
	v_add3_u32 v226, v64, v226, v229                           // 000000007020: D1FF00E2 0797C540
	v_cndmask_b32_e64 v32, v226, v228, s[74:75]                // 000000007028: D1000020 012BC9E2
	v_lshrrev_b32_e32 v32, 16, v32                             // 000000007030: 20404090
	v_cmp_u_f32_e64 s[74:75], v65, v65                         // 000000007034: D048004A 00028341
	v_bfe_u32 v226, v65, 16, 1                                 // 00000000703C: D1C800E2 02052141
	v_add3_u32 v226, v65, v226, v229                           // 000000007044: D1FF00E2 0797C541
	v_cndmask_b32_e64 v33, v226, v228, s[74:75]                // 00000000704C: D1000021 012BC9E2
	v_and_or_b32 v170, v33, v227, v32                          // 000000007054: D20100AA 0483C721
	v_cmp_u_f32_e64 s[74:75], v66, v66                         // 00000000705C: D048004A 00028542
	v_bfe_u32 v226, v66, 16, 1                                 // 000000007064: D1C800E2 02052142
	v_add3_u32 v226, v66, v226, v229                           // 00000000706C: D1FF00E2 0797C542
	v_cndmask_b32_e64 v32, v226, v228, s[74:75]                // 000000007074: D1000020 012BC9E2
	v_lshrrev_b32_e32 v32, 16, v32                             // 00000000707C: 20404090
	v_cmp_u_f32_e64 s[74:75], v67, v67                         // 000000007080: D048004A 00028743
	v_bfe_u32 v226, v67, 16, 1                                 // 000000007088: D1C800E2 02052143
	v_add3_u32 v226, v67, v226, v229                           // 000000007090: D1FF00E2 0797C543
	v_cndmask_b32_e64 v33, v226, v228, s[74:75]                // 000000007098: D1000021 012BC9E2
	v_and_or_b32 v171, v33, v227, v32                          // 0000000070A0: D20100AB 0483C721
	v_cmp_u_f32_e64 s[74:75], v68, v68                         // 0000000070A8: D048004A 00028944
	v_bfe_u32 v226, v68, 16, 1                                 // 0000000070B0: D1C800E2 02052144
	v_add3_u32 v226, v68, v226, v229                           // 0000000070B8: D1FF00E2 0797C544
	v_cndmask_b32_e64 v32, v226, v228, s[74:75]                // 0000000070C0: D1000020 012BC9E2
	v_lshrrev_b32_e32 v32, 16, v32                             // 0000000070C8: 20404090
	v_cmp_u_f32_e64 s[74:75], v69, v69                         // 0000000070CC: D048004A 00028B45
	v_bfe_u32 v226, v69, 16, 1                                 // 0000000070D4: D1C800E2 02052145
	v_add3_u32 v226, v69, v226, v229                           // 0000000070DC: D1FF00E2 0797C545
	v_cndmask_b32_e64 v33, v226, v228, s[74:75]                // 0000000070E4: D1000021 012BC9E2
	v_and_or_b32 v172, v33, v227, v32                          // 0000000070EC: D20100AC 0483C721
	v_cmp_u_f32_e64 s[74:75], v70, v70                         // 0000000070F4: D048004A 00028D46
	v_bfe_u32 v226, v70, 16, 1                                 // 0000000070FC: D1C800E2 02052146
	v_add3_u32 v226, v70, v226, v229                           // 000000007104: D1FF00E2 0797C546
	v_cndmask_b32_e64 v32, v226, v228, s[74:75]                // 00000000710C: D1000020 012BC9E2
	v_lshrrev_b32_e32 v32, 16, v32                             // 000000007114: 20404090
	v_cmp_u_f32_e64 s[74:75], v71, v71                         // 000000007118: D048004A 00028F47
	v_bfe_u32 v226, v71, 16, 1                                 // 000000007120: D1C800E2 02052147
	v_add3_u32 v226, v71, v226, v229                           // 000000007128: D1FF00E2 0797C547
	v_cndmask_b32_e64 v33, v226, v228, s[74:75]                // 000000007130: D1000021 012BC9E2
	v_and_or_b32 v173, v33, v227, v32                          // 000000007138: D20100AD 0483C721
	v_cmp_u_f32_e64 s[74:75], v72, v72                         // 000000007140: D048004A 00029148
	v_bfe_u32 v226, v72, 16, 1                                 // 000000007148: D1C800E2 02052148
	v_add3_u32 v226, v72, v226, v229                           // 000000007150: D1FF00E2 0797C548
	v_cndmask_b32_e64 v32, v226, v228, s[74:75]                // 000000007158: D1000020 012BC9E2
	v_lshrrev_b32_e32 v32, 16, v32                             // 000000007160: 20404090
	v_cmp_u_f32_e64 s[74:75], v73, v73                         // 000000007164: D048004A 00029349
	v_bfe_u32 v226, v73, 16, 1                                 // 00000000716C: D1C800E2 02052149
	v_add3_u32 v226, v73, v226, v229                           // 000000007174: D1FF00E2 0797C549
	v_cndmask_b32_e64 v33, v226, v228, s[74:75]                // 00000000717C: D1000021 012BC9E2
	v_and_or_b32 v174, v33, v227, v32                          // 000000007184: D20100AE 0483C721
	v_cmp_u_f32_e64 s[74:75], v74, v74                         // 00000000718C: D048004A 0002954A
	v_bfe_u32 v226, v74, 16, 1                                 // 000000007194: D1C800E2 0205214A
	v_add3_u32 v226, v74, v226, v229                           // 00000000719C: D1FF00E2 0797C54A
	v_cndmask_b32_e64 v32, v226, v228, s[74:75]                // 0000000071A4: D1000020 012BC9E2
	v_lshrrev_b32_e32 v32, 16, v32                             // 0000000071AC: 20404090
	v_cmp_u_f32_e64 s[74:75], v75, v75                         // 0000000071B0: D048004A 0002974B
	v_bfe_u32 v226, v75, 16, 1                                 // 0000000071B8: D1C800E2 0205214B
	v_add3_u32 v226, v75, v226, v229                           // 0000000071C0: D1FF00E2 0797C54B
	v_cndmask_b32_e64 v33, v226, v228, s[74:75]                // 0000000071C8: D1000021 012BC9E2
	v_and_or_b32 v175, v33, v227, v32                          // 0000000071D0: D20100AF 0483C721
	v_mfma_f32_16x16x16_bf16 v[96:99], v[120:121], a[92:93], v[96:99]// 0000000071D8: D3E10060 1582B978
	s_add_u32 s32, s66, s32                                    // 0000000071E0: 80202042
	s_addc_u32 s33, 0, s33                                     // 0000000071E4: 82212180
	v_mfma_f32_16x16x16_bf16 v[96:99], v[122:123], a[94:95], v[96:99]// 0000000071E8: D3E10060 1582BD7A
	s_waitcnt lgkmcnt(0)                                       // 0000000071F0: BF8CC07F
	s_barrier                                                  // 0000000071F4: BF8A0000
	v_mfma_f32_16x16x16_bf16 v[178:181], v[124:125], v[164:165], v[178:181]// 0000000071F8: D3E100B2 06CB497C
	v_subrev_f32_dpp v76, v176, v76 quad_perm:[0,0,0,0] row_mask:0xf bank_mask:0xf// 000000007200: 069898FA FF0000B0
	v_subrev_f32_dpp v77, v176, v77 quad_perm:[1,1,1,1] row_mask:0xf bank_mask:0xf// 000000007208: 069A9AFA FF0055B0
	v_subrev_f32_dpp v78, v176, v78 quad_perm:[2,2,2,2] row_mask:0xf bank_mask:0xf// 000000007210: 069C9CFA FF00AAB0
	v_subrev_f32_dpp v79, v176, v79 quad_perm:[3,3,3,3] row_mask:0xf bank_mask:0xf// 000000007218: 069E9EFA FF00FFB0
	v_subrev_f32_dpp v80, v176, v80 quad_perm:[0,0,0,0] row_mask:0xf bank_mask:0xf// 000000007220: 06A0A0FA FF0000B0
	v_subrev_f32_dpp v81, v176, v81 quad_perm:[1,1,1,1] row_mask:0xf bank_mask:0xf// 000000007228: 06A2A2FA FF0055B0
	v_mfma_f32_16x16x16_bf16 v[182:185], v[126:127], v[164:165], v[182:185]// 000000007230: D3E100B6 06DB497E
	v_subrev_f32_dpp v82, v176, v82 quad_perm:[2,2,2,2] row_mask:0xf bank_mask:0xf// 000000007238: 06A4A4FA FF00AAB0
	v_subrev_f32_dpp v83, v176, v83 quad_perm:[3,3,3,3] row_mask:0xf bank_mask:0xf// 000000007240: 06A6A6FA FF00FFB0
	v_subrev_f32_dpp v84, v176, v84 quad_perm:[0,0,0,0] row_mask:0xf bank_mask:0xf// 000000007248: 06A8A8FA FF0000B0
	v_subrev_f32_dpp v85, v176, v85 quad_perm:[1,1,1,1] row_mask:0xf bank_mask:0xf// 000000007250: 06AAAAFA FF0055B0
	v_subrev_f32_dpp v86, v176, v86 quad_perm:[2,2,2,2] row_mask:0xf bank_mask:0xf// 000000007258: 06ACACFA FF00AAB0
	v_subrev_f32_dpp v87, v176, v87 quad_perm:[3,3,3,3] row_mask:0xf bank_mask:0xf// 000000007260: 06AEAEFA FF00FFB0
	v_mfma_f32_16x16x16_bf16 v[186:189], v[128:129], v[164:165], v[186:189]// 000000007268: D3E100BA 06EB4980
	v_mul_f32_e32 v76, v52, v76                                // 000000007270: 0A989934
	v_mul_f32_e32 v77, v53, v77                                // 000000007274: 0A9A9B35
	v_mul_f32_e32 v78, v54, v78                                // 000000007278: 0A9C9D36
	v_mul_f32_e32 v79, v55, v79                                // 00000000727C: 0A9E9F37
	v_mul_f32_e32 v80, v56, v80                                // 000000007280: 0AA0A138
	v_mul_f32_e32 v81, v57, v81                                // 000000007284: 0AA2A339
	v_mfma_f32_16x16x16_bf16 v[190:193], v[130:131], v[164:165], v[190:193]// 000000007288: D3E100BE 06FB4982
	v_mul_f32_e32 v82, v58, v82                                // 000000007290: 0AA4A53A
	v_mul_f32_e32 v83, v59, v83                                // 000000007294: 0AA6A73B
	v_mul_f32_e32 v84, v60, v84                                // 000000007298: 0AA8A93C
	v_mul_f32_e32 v85, v61, v85                                // 00000000729C: 0AAAAB3D
	v_mul_f32_e32 v86, v62, v86                                // 0000000072A0: 0AACAD3E
	v_mul_f32_e32 v87, v63, v87                                // 0000000072A4: 0AAEAF3F
	v_mfma_f32_16x16x16_bf16 v[194:197], v[124:125], v[166:167], v[194:197]// 0000000072A8: D3E100C2 070B4D7C
	v_cmp_u_f32_e64 s[74:75], v76, v76                         // 0000000072B0: D048004A 0002994C
	v_bfe_u32 v226, v76, 16, 1                                 // 0000000072B8: D1C800E2 0205214C
	v_add3_u32 v226, v76, v226, v229                           // 0000000072C0: D1FF00E2 0797C54C
	v_cndmask_b32_e64 v32, v226, v228, s[74:75]                // 0000000072C8: D1000020 012BC9E2
	v_lshrrev_b32_e32 v32, 16, v32                             // 0000000072D0: 20404090
	v_cmp_u_f32_e64 s[74:75], v77, v77                         // 0000000072D4: D048004A 00029B4D
	v_bfe_u32 v226, v77, 16, 1                                 // 0000000072DC: D1C800E2 0205214D
	v_add3_u32 v226, v77, v226, v229                           // 0000000072E4: D1FF00E2 0797C54D
	v_cndmask_b32_e64 v33, v226, v228, s[74:75]                // 0000000072EC: D1000021 012BC9E2
	v_and_or_b32 v76, v33, v227, v32                           // 0000000072F4: D201004C 0483C721
	v_cmp_u_f32_e64 s[74:75], v78, v78                         // 0000000072FC: D048004A 00029D4E
	v_bfe_u32 v226, v78, 16, 1                                 // 000000007304: D1C800E2 0205214E
	v_add3_u32 v226, v78, v226, v229                           // 00000000730C: D1FF00E2 0797C54E
	v_cndmask_b32_e64 v32, v226, v228, s[74:75]                // 000000007314: D1000020 012BC9E2
	v_lshrrev_b32_e32 v32, 16, v32                             // 00000000731C: 20404090
	v_cmp_u_f32_e64 s[74:75], v79, v79                         // 000000007320: D048004A 00029F4F
	v_bfe_u32 v226, v79, 16, 1                                 // 000000007328: D1C800E2 0205214F
	v_add3_u32 v226, v79, v226, v229                           // 000000007330: D1FF00E2 0797C54F
	v_cndmask_b32_e64 v33, v226, v228, s[74:75]                // 000000007338: D1000021 012BC9E2
	v_and_or_b32 v77, v33, v227, v32                           // 000000007340: D201004D 0483C721
	v_cmp_u_f32_e64 s[74:75], v80, v80                         // 000000007348: D048004A 0002A150
	v_bfe_u32 v226, v80, 16, 1                                 // 000000007350: D1C800E2 02052150
	v_add3_u32 v226, v80, v226, v229                           // 000000007358: D1FF00E2 0797C550
	v_cndmask_b32_e64 v32, v226, v228, s[74:75]                // 000000007360: D1000020 012BC9E2
	v_lshrrev_b32_e32 v32, 16, v32                             // 000000007368: 20404090
	v_cmp_u_f32_e64 s[74:75], v81, v81                         // 00000000736C: D048004A 0002A351
	v_bfe_u32 v226, v81, 16, 1                                 // 000000007374: D1C800E2 02052151
	v_add3_u32 v226, v81, v226, v229                           // 00000000737C: D1FF00E2 0797C551
	v_cndmask_b32_e64 v33, v226, v228, s[74:75]                // 000000007384: D1000021 012BC9E2
	v_and_or_b32 v78, v33, v227, v32                           // 00000000738C: D201004E 0483C721
	v_cmp_u_f32_e64 s[74:75], v82, v82                         // 000000007394: D048004A 0002A552
	v_bfe_u32 v226, v82, 16, 1                                 // 00000000739C: D1C800E2 02052152
	v_add3_u32 v226, v82, v226, v229                           // 0000000073A4: D1FF00E2 0797C552
	v_cndmask_b32_e64 v32, v226, v228, s[74:75]                // 0000000073AC: D1000020 012BC9E2
	v_lshrrev_b32_e32 v32, 16, v32                             // 0000000073B4: 20404090
	v_cmp_u_f32_e64 s[74:75], v83, v83                         // 0000000073B8: D048004A 0002A753
	v_bfe_u32 v226, v83, 16, 1                                 // 0000000073C0: D1C800E2 02052153
	v_add3_u32 v226, v83, v226, v229                           // 0000000073C8: D1FF00E2 0797C553
	v_cndmask_b32_e64 v33, v226, v228, s[74:75]                // 0000000073D0: D1000021 012BC9E2
	v_and_or_b32 v79, v33, v227, v32                           // 0000000073D8: D201004F 0483C721
	v_cmp_u_f32_e64 s[74:75], v84, v84                         // 0000000073E0: D048004A 0002A954
	v_bfe_u32 v226, v84, 16, 1                                 // 0000000073E8: D1C800E2 02052154
	v_add3_u32 v226, v84, v226, v229                           // 0000000073F0: D1FF00E2 0797C554
	v_cndmask_b32_e64 v32, v226, v228, s[74:75]                // 0000000073F8: D1000020 012BC9E2
	v_lshrrev_b32_e32 v32, 16, v32                             // 000000007400: 20404090
	v_cmp_u_f32_e64 s[74:75], v85, v85                         // 000000007404: D048004A 0002AB55
	v_bfe_u32 v226, v85, 16, 1                                 // 00000000740C: D1C800E2 02052155
	v_add3_u32 v226, v85, v226, v229                           // 000000007414: D1FF00E2 0797C555
	v_cndmask_b32_e64 v33, v226, v228, s[74:75]                // 00000000741C: D1000021 012BC9E2
	v_and_or_b32 v80, v33, v227, v32                           // 000000007424: D2010050 0483C721
	v_cmp_u_f32_e64 s[74:75], v86, v86                         // 00000000742C: D048004A 0002AD56
	v_bfe_u32 v226, v86, 16, 1                                 // 000000007434: D1C800E2 02052156
	v_add3_u32 v226, v86, v226, v229                           // 00000000743C: D1FF00E2 0797C556
	v_cndmask_b32_e64 v32, v226, v228, s[74:75]                // 000000007444: D1000020 012BC9E2
	v_lshrrev_b32_e32 v32, 16, v32                             // 00000000744C: 20404090
	v_cmp_u_f32_e64 s[74:75], v87, v87                         // 000000007450: D048004A 0002AF57
	v_bfe_u32 v226, v87, 16, 1                                 // 000000007458: D1C800E2 02052157
	v_add3_u32 v226, v87, v226, v229                           // 000000007460: D1FF00E2 0797C557
	v_cndmask_b32_e64 v33, v226, v228, s[74:75]                // 000000007468: D1000021 012BC9E2
	v_and_or_b32 v81, v33, v227, v32                           // 000000007470: D2010051 0483C721
	v_mfma_f32_16x16x16_bf16 v[198:201], v[126:127], v[166:167], v[198:201]// 000000007478: D3E100C6 071B4D7E
	v_mov_b32_dpp v22, v76 quad_perm:[1,0,3,2] row_mask:0xf bank_mask:0xf// 000000007480: 7E2C02FA FF00B14C
	v_perm_b32 v52, v22, v76, v21                              // 000000007488: D1ED0034 04569916
	v_mov_b32_dpp v22, v77 quad_perm:[1,0,3,2] row_mask:0xf bank_mask:0xf// 000000007490: 7E2C02FA FF00B14D
	v_perm_b32 v53, v22, v77, v21                              // 000000007498: D1ED0035 04569B16
	v_mov_b32_dpp v22, v78 quad_perm:[1,0,3,2] row_mask:0xf bank_mask:0xf// 0000000074A0: 7E2C02FA FF00B14E
	v_perm_b32 v54, v22, v78, v21                              // 0000000074A8: D1ED0036 04569D16
	v_mfma_f32_16x16x16_bf16 v[202:205], v[128:129], v[166:167], v[202:205]// 0000000074B0: D3E100CA 072B4D80
	v_mov_b32_dpp v22, v79 quad_perm:[1,0,3,2] row_mask:0xf bank_mask:0xf// 0000000074B8: 7E2C02FA FF00B14F
	v_perm_b32 v55, v22, v79, v21                              // 0000000074C0: D1ED0037 04569F16
	v_mov_b32_dpp v22, v80 quad_perm:[1,0,3,2] row_mask:0xf bank_mask:0xf// 0000000074C8: 7E2C02FA FF00B150
	v_perm_b32 v56, v22, v80, v21                              // 0000000074D0: D1ED0038 0456A116
	v_mov_b32_dpp v22, v81 quad_perm:[1,0,3,2] row_mask:0xf bank_mask:0xf// 0000000074D8: 7E2C02FA FF00B151
	v_perm_b32 v57, v22, v81, v21                              // 0000000074E0: D1ED0039 0456A316
	v_mfma_f32_16x16x16_bf16 v[206:209], v[130:131], v[166:167], v[206:209]// 0000000074E8: D3E100CE 073B4D82
	ds_write_b32 v24, v52 offset:17408                         // 0000000074F0: D81A4400 00003418
	ds_write_b32 v24, v53 offset:17952                         // 0000000074F8: D81A4620 00003518
	v_mfma_f32_16x16x16_bf16 v[210:213], v[124:125], v[168:169], v[210:213]// 000000007500: D3E100D2 074B517C
	v_subrev_f32_dpp v88, v177, v88 quad_perm:[0,0,0,0] row_mask:0xf bank_mask:0xf// 000000007508: 06B0B0FA FF0000B1
	v_subrev_f32_dpp v89, v177, v89 quad_perm:[1,1,1,1] row_mask:0xf bank_mask:0xf// 000000007510: 06B2B2FA FF0055B1
	v_subrev_f32_dpp v90, v177, v90 quad_perm:[2,2,2,2] row_mask:0xf bank_mask:0xf// 000000007518: 06B4B4FA FF00AAB1
	v_subrev_f32_dpp v91, v177, v91 quad_perm:[3,3,3,3] row_mask:0xf bank_mask:0xf// 000000007520: 06B6B6FA FF00FFB1
	v_subrev_f32_dpp v92, v177, v92 quad_perm:[0,0,0,0] row_mask:0xf bank_mask:0xf// 000000007528: 06B8B8FA FF0000B1
	v_subrev_f32_dpp v93, v177, v93 quad_perm:[1,1,1,1] row_mask:0xf bank_mask:0xf// 000000007530: 06BABAFA FF0055B1
	v_mfma_f32_16x16x16_bf16 v[214:217], v[126:127], v[168:169], v[214:217]// 000000007538: D3E100D6 075B517E
	ds_write_b32 v24, v54 offset:19712                         // 000000007540: D81A4D00 00003618
	ds_write_b32 v24, v55 offset:20256                         // 000000007548: D81A4F20 00003718
	v_mfma_f32_16x16x16_bf16 v[218:221], v[128:129], v[168:169], v[218:221]// 000000007550: D3E100DA 076B5180
	v_subrev_f32_dpp v94, v177, v94 quad_perm:[2,2,2,2] row_mask:0xf bank_mask:0xf// 000000007558: 06BCBCFA FF00AAB1
	v_subrev_f32_dpp v95, v177, v95 quad_perm:[3,3,3,3] row_mask:0xf bank_mask:0xf// 000000007560: 06BEBEFA FF00FFB1
	v_subrev_f32_dpp v96, v177, v96 quad_perm:[0,0,0,0] row_mask:0xf bank_mask:0xf// 000000007568: 06C0C0FA FF0000B1
	v_subrev_f32_dpp v97, v177, v97 quad_perm:[1,1,1,1] row_mask:0xf bank_mask:0xf// 000000007570: 06C2C2FA FF0055B1
	v_subrev_f32_dpp v98, v177, v98 quad_perm:[2,2,2,2] row_mask:0xf bank_mask:0xf// 000000007578: 06C4C4FA FF00AAB1
	v_subrev_f32_dpp v99, v177, v99 quad_perm:[3,3,3,3] row_mask:0xf bank_mask:0xf// 000000007580: 06C6C6FA FF00FFB1
	v_mfma_f32_16x16x16_bf16 v[222:225], v[130:131], v[168:169], v[222:225]// 000000007588: D3E100DE 077B5182
	ds_write_b32 v24, v56 offset:22016                         // 000000007590: D81A5600 00003818
	ds_write_b32 v24, v57 offset:22560                         // 000000007598: D81A5820 00003918
	v_mfma_f32_16x16x16_bf16 v[178:181], v[132:133], v[170:171], v[178:181]// 0000000075A0: D3E100B2 06CB5584
	v_mul_f32_e32 v88, v64, v88                                // 0000000075A8: 0AB0B140
	v_mul_f32_e32 v89, v65, v89                                // 0000000075AC: 0AB2B341
	v_mul_f32_e32 v90, v66, v90                                // 0000000075B0: 0AB4B542
	v_mul_f32_e32 v91, v67, v91                                // 0000000075B4: 0AB6B743
	v_mul_f32_e32 v92, v68, v92                                // 0000000075B8: 0AB8B944
	v_mul_f32_e32 v93, v69, v93                                // 0000000075BC: 0ABABB45
	v_mfma_f32_16x16x16_bf16 v[182:185], v[134:135], v[170:171], v[182:185]// 0000000075C0: D3E100B6 06DB5586
	v_mul_f32_e32 v94, v70, v94                                // 0000000075C8: 0ABCBD46
	v_mul_f32_e32 v95, v71, v95                                // 0000000075CC: 0ABEBF47
	v_mul_f32_e32 v96, v72, v96                                // 0000000075D0: 0AC0C148
	v_mul_f32_e32 v97, v73, v97                                // 0000000075D4: 0AC2C349
	v_mul_f32_e32 v98, v74, v98                                // 0000000075D8: 0AC4C54A
	v_mul_f32_e32 v99, v75, v99                                // 0000000075DC: 0AC6C74B
	v_mfma_f32_16x16x16_bf16 v[186:189], v[136:137], v[170:171], v[186:189]// 0000000075E0: D3E100BA 06EB5588
	v_cmp_u_f32_e64 s[74:75], v88, v88                         // 0000000075E8: D048004A 0002B158
	v_bfe_u32 v226, v88, 16, 1                                 // 0000000075F0: D1C800E2 02052158
	v_add3_u32 v226, v88, v226, v229                           // 0000000075F8: D1FF00E2 0797C558
	v_cndmask_b32_e64 v32, v226, v228, s[74:75]                // 000000007600: D1000020 012BC9E2
	v_lshrrev_b32_e32 v32, 16, v32                             // 000000007608: 20404090
	v_cmp_u_f32_e64 s[74:75], v89, v89                         // 00000000760C: D048004A 0002B359
	v_bfe_u32 v226, v89, 16, 1                                 // 000000007614: D1C800E2 02052159
	v_add3_u32 v226, v89, v226, v229                           // 00000000761C: D1FF00E2 0797C559
	v_cndmask_b32_e64 v33, v226, v228, s[74:75]                // 000000007624: D1000021 012BC9E2
	v_and_or_b32 v82, v33, v227, v32                           // 00000000762C: D2010052 0483C721
	v_cmp_u_f32_e64 s[74:75], v90, v90                         // 000000007634: D048004A 0002B55A
	v_bfe_u32 v226, v90, 16, 1                                 // 00000000763C: D1C800E2 0205215A
	v_add3_u32 v226, v90, v226, v229                           // 000000007644: D1FF00E2 0797C55A
	v_cndmask_b32_e64 v32, v226, v228, s[74:75]                // 00000000764C: D1000020 012BC9E2
	v_lshrrev_b32_e32 v32, 16, v32                             // 000000007654: 20404090
	v_cmp_u_f32_e64 s[74:75], v91, v91                         // 000000007658: D048004A 0002B75B
	v_bfe_u32 v226, v91, 16, 1                                 // 000000007660: D1C800E2 0205215B
	v_add3_u32 v226, v91, v226, v229                           // 000000007668: D1FF00E2 0797C55B
	v_cndmask_b32_e64 v33, v226, v228, s[74:75]                // 000000007670: D1000021 012BC9E2
	v_and_or_b32 v83, v33, v227, v32                           // 000000007678: D2010053 0483C721
	v_cmp_u_f32_e64 s[74:75], v92, v92                         // 000000007680: D048004A 0002B95C
	v_bfe_u32 v226, v92, 16, 1                                 // 000000007688: D1C800E2 0205215C
	v_add3_u32 v226, v92, v226, v229                           // 000000007690: D1FF00E2 0797C55C
	v_cndmask_b32_e64 v32, v226, v228, s[74:75]                // 000000007698: D1000020 012BC9E2
	v_lshrrev_b32_e32 v32, 16, v32                             // 0000000076A0: 20404090
	v_cmp_u_f32_e64 s[74:75], v93, v93                         // 0000000076A4: D048004A 0002BB5D
	v_bfe_u32 v226, v93, 16, 1                                 // 0000000076AC: D1C800E2 0205215D
	v_add3_u32 v226, v93, v226, v229                           // 0000000076B4: D1FF00E2 0797C55D
	v_cndmask_b32_e64 v33, v226, v228, s[74:75]                // 0000000076BC: D1000021 012BC9E2
	v_and_or_b32 v84, v33, v227, v32                           // 0000000076C4: D2010054 0483C721
	v_cmp_u_f32_e64 s[74:75], v94, v94                         // 0000000076CC: D048004A 0002BD5E
	v_bfe_u32 v226, v94, 16, 1                                 // 0000000076D4: D1C800E2 0205215E
	v_add3_u32 v226, v94, v226, v229                           // 0000000076DC: D1FF00E2 0797C55E
	v_cndmask_b32_e64 v32, v226, v228, s[74:75]                // 0000000076E4: D1000020 012BC9E2
	v_lshrrev_b32_e32 v32, 16, v32                             // 0000000076EC: 20404090
	v_cmp_u_f32_e64 s[74:75], v95, v95                         // 0000000076F0: D048004A 0002BF5F
	v_bfe_u32 v226, v95, 16, 1                                 // 0000000076F8: D1C800E2 0205215F
	v_add3_u32 v226, v95, v226, v229                           // 000000007700: D1FF00E2 0797C55F
	v_cndmask_b32_e64 v33, v226, v228, s[74:75]                // 000000007708: D1000021 012BC9E2
	v_and_or_b32 v85, v33, v227, v32                           // 000000007710: D2010055 0483C721
	v_cmp_u_f32_e64 s[74:75], v96, v96                         // 000000007718: D048004A 0002C160
	v_bfe_u32 v226, v96, 16, 1                                 // 000000007720: D1C800E2 02052160
	v_add3_u32 v226, v96, v226, v229                           // 000000007728: D1FF00E2 0797C560
	v_cndmask_b32_e64 v32, v226, v228, s[74:75]                // 000000007730: D1000020 012BC9E2
	v_lshrrev_b32_e32 v32, 16, v32                             // 000000007738: 20404090
	v_cmp_u_f32_e64 s[74:75], v97, v97                         // 00000000773C: D048004A 0002C361
	v_bfe_u32 v226, v97, 16, 1                                 // 000000007744: D1C800E2 02052161
	v_add3_u32 v226, v97, v226, v229                           // 00000000774C: D1FF00E2 0797C561
	v_cndmask_b32_e64 v33, v226, v228, s[74:75]                // 000000007754: D1000021 012BC9E2
	v_and_or_b32 v86, v33, v227, v32                           // 00000000775C: D2010056 0483C721
	v_cmp_u_f32_e64 s[74:75], v98, v98                         // 000000007764: D048004A 0002C562
	v_bfe_u32 v226, v98, 16, 1                                 // 00000000776C: D1C800E2 02052162
	v_add3_u32 v226, v98, v226, v229                           // 000000007774: D1FF00E2 0797C562
	v_cndmask_b32_e64 v32, v226, v228, s[74:75]                // 00000000777C: D1000020 012BC9E2
	v_lshrrev_b32_e32 v32, 16, v32                             // 000000007784: 20404090
	v_cmp_u_f32_e64 s[74:75], v99, v99                         // 000000007788: D048004A 0002C763
	v_bfe_u32 v226, v99, 16, 1                                 // 000000007790: D1C800E2 02052163
	v_add3_u32 v226, v99, v226, v229                           // 000000007798: D1FF00E2 0797C563
	v_cndmask_b32_e64 v33, v226, v228, s[74:75]                // 0000000077A0: D1000021 012BC9E2
	v_and_or_b32 v87, v33, v227, v32                           // 0000000077A8: D2010057 0483C721
	v_mfma_f32_16x16x16_bf16 v[190:193], v[138:139], v[170:171], v[190:193]// 0000000077B0: D3E100BE 06FB558A
	v_mov_b32_dpp v22, v82 quad_perm:[1,0,3,2] row_mask:0xf bank_mask:0xf// 0000000077B8: 7E2C02FA FF00B152
	v_perm_b32 v58, v22, v82, v21                              // 0000000077C0: D1ED003A 0456A516
	v_mov_b32_dpp v22, v83 quad_perm:[1,0,3,2] row_mask:0xf bank_mask:0xf// 0000000077C8: 7E2C02FA FF00B153
	v_perm_b32 v59, v22, v83, v21                              // 0000000077D0: D1ED003B 0456A716
	v_mov_b32_dpp v22, v84 quad_perm:[1,0,3,2] row_mask:0xf bank_mask:0xf// 0000000077D8: 7E2C02FA FF00B154
	v_perm_b32 v60, v22, v84, v21                              // 0000000077E0: D1ED003C 0456A916
	v_mfma_f32_16x16x16_bf16 v[194:197], v[132:133], v[172:173], v[194:197]// 0000000077E8: D3E100C2 070B5984
	v_mov_b32_dpp v22, v85 quad_perm:[1,0,3,2] row_mask:0xf bank_mask:0xf// 0000000077F0: 7E2C02FA FF00B155
	v_perm_b32 v61, v22, v85, v21                              // 0000000077F8: D1ED003D 0456AB16
	v_mov_b32_dpp v22, v86 quad_perm:[1,0,3,2] row_mask:0xf bank_mask:0xf// 000000007800: 7E2C02FA FF00B156
	v_perm_b32 v62, v22, v86, v21                              // 000000007808: D1ED003E 0456AD16
	v_mov_b32_dpp v22, v87 quad_perm:[1,0,3,2] row_mask:0xf bank_mask:0xf// 000000007810: 7E2C02FA FF00B157
	v_perm_b32 v63, v22, v87, v21                              // 000000007818: D1ED003F 0456AF16
	v_mfma_f32_16x16x16_bf16 v[198:201], v[134:135], v[172:173], v[198:201]// 000000007820: D3E100C6 071B5986
	ds_write_b32 v24, v58 offset:24320                         // 000000007828: D81A5F00 00003A18
	ds_write_b32 v24, v59 offset:24864                         // 000000007830: D81A6120 00003B18
	v_mfma_f32_16x16x16_bf16 v[202:205], v[136:137], v[172:173], v[202:205]// 000000007838: D3E100CA 072B5988
	v_mfma_f32_16x16x16_bf16 v[206:209], v[138:139], v[172:173], v[206:209]// 000000007840: D3E100CE 073B598A
	ds_write_b32 v24, v60 offset:26624                         // 000000007848: D81A6800 00003C18
	ds_write_b32 v24, v61 offset:27168                         // 000000007850: D81A6A20 00003D18
	ds_write_b32 v24, v62 offset:28928                         // 000000007858: D81A7100 00003E18
	ds_write_b32 v24, v63 offset:29472                         // 000000007860: D81A7320 00003F18
	v_mfma_f32_16x16x16_bf16 v[210:213], v[132:133], v[174:175], v[210:213]// 000000007868: D3E100D2 074B5D84
	v_mfma_f32_16x16x16_bf16 v[214:217], v[134:135], v[174:175], v[214:217]// 000000007870: D3E100D6 075B5D86
	ds_write_b32 v19, v100 offset:4352                         // 000000007878: D81A1100 00006413
	ds_write_b32 v19, v101 offset:5408                         // 000000007880: D81A1520 00006513
	v_mfma_f32_16x16x16_bf16 v[218:221], v[136:137], v[174:175], v[218:221]// 000000007888: D3E100DA 076B5D88
	s_nop 0                                                    // 000000007890: BF800000
	s_nop 0                                                    // 000000007894: BF800000
	;; [unrolled: 1-line block ×3, first 2 shown]
	v_mfma_f32_16x16x16_bf16 v[222:225], v[138:139], v[174:175], v[222:225]// 00000000789C: D3E100DE 077B5D8A
	ds_write_b32 v19, v102 offset:6528                         // 0000000078A4: D81A1980 00006613
	ds_write_b32 v19, v103 offset:7584                         // 0000000078AC: D81A1DA0 00006713
	s_barrier                                                  // 0000000078B4: BF8A0000
	v_mfma_f32_16x16x16_bf16 a[112:115], a[96:97], v[76:77], a[112:115]// 0000000078B8: D3E18070 0DC29960
	global_atomic_pk_add_bf16 v6, v156, s[32:33]               // 0000000078C0: DD488000 00209C06
	v_mfma_f32_16x16x16_bf16 a[116:119], a[98:99], v[76:77], a[116:119]// 0000000078C8: D3E18074 0DD29962
	ds_read_b32 v140, v27 offset:35584                         // 0000000078D0: D86C8B00 8C00001B
	ds_read_b32 v144, v27 offset:35648                         // 0000000078D8: D86C8B40 9000001B
	ds_read_b32 v176, v27 offset:35840                         // 0000000078E0: D86C8C00 B000001B
	ds_read_b32 v177, v27 offset:35904                         // 0000000078E8: D86C8C40 B100001B
	v_mfma_f32_16x16x16_bf16 a[120:123], a[100:101], v[76:77], a[120:123]// 0000000078F0: D3E18078 0DE29964
	s_waitcnt lgkmcnt(8)                                       // 0000000078F8: BF8CC87F
	s_barrier                                                  // 0000000078FC: BF8A0000
	v_mfma_f32_16x16x16_bf16 a[124:127], a[102:103], v[76:77], a[124:127]// 000000007900: D3E1807C 0DF29966
	ds_read_b128 v[52:55], v23 offset:17408                    // 000000007908: D9FE4400 34000017
	v_mfma_f32_16x16x16_bf16 a[128:131], a[96:97], v[78:79], a[128:131]// 000000007910: D3E18080 0E029D60
	v_mfma_f32_16x16x16_bf16 a[132:135], a[98:99], v[78:79], a[132:135]// 000000007918: D3E18084 0E129D62
	ds_read_b128 v[56:59], v23 offset:18560                    // 000000007920: D9FE4880 38000017
	v_mfma_f32_16x16x16_bf16 a[136:139], a[100:101], v[78:79], a[136:139]// 000000007928: D3E18088 0E229D64
	global_atomic_pk_add_bf16 v8, v157, s[32:33]               // 000000007930: DD488000 00209D08
	v_mfma_f32_16x16x16_bf16 a[140:143], a[102:103], v[78:79], a[140:143]// 000000007938: D3E1808C 0E329D66
	ds_read_b128 v[60:63], v23 offset:19712                    // 000000007940: D9FE4D00 3C000017
	v_mfma_f32_16x16x16_bf16 a[144:147], a[96:97], v[80:81], a[144:147]// 000000007948: D3E18090 0E42A160
	v_mfma_f32_16x16x16_bf16 a[148:151], a[98:99], v[80:81], a[148:151]// 000000007950: D3E18094 0E52A162
	ds_read_b128 v[64:67], v23 offset:20864                    // 000000007958: D9FE5180 40000017
	v_mfma_f32_16x16x16_bf16 a[152:155], a[100:101], v[80:81], a[152:155]// 000000007960: D3E18098 0E62A164
	v_mfma_f32_16x16x16_bf16 a[156:159], a[102:103], v[80:81], a[156:159]// 000000007968: D3E1809C 0E72A166
	ds_read_b128 v[68:71], v23 offset:22016                    // 000000007970: D9FE5600 44000017
	v_mfma_f32_16x16x16_bf16 a[112:115], a[104:105], v[82:83], a[112:115]// 000000007978: D3E18070 0DC2A568
	global_atomic_pk_add_bf16 v10, v158, s[32:33]              // 000000007980: DD488000 00209E0A
	v_mfma_f32_16x16x16_bf16 a[116:119], a[106:107], v[82:83], a[116:119]// 000000007988: D3E18074 0DD2A56A
	ds_read_b128 v[72:75], v23 offset:23168                    // 000000007990: D9FE5A80 48000017
	v_mfma_f32_16x16x16_bf16 a[120:123], a[108:109], v[82:83], a[120:123]// 000000007998: D3E18078 0DE2A56C
	v_mfma_f32_16x16x16_bf16 a[124:127], a[110:111], v[82:83], a[124:127]// 0000000079A0: D3E1807C 0DF2A56E
	ds_write_b32 v19, v104 offset:13056                        // 0000000079A8: D81A3300 00006813
	v_mfma_f32_16x16x16_bf16 a[128:131], a[104:105], v[84:85], a[128:131]// 0000000079B0: D3E18080 0E02A968
	v_mfma_f32_16x16x16_bf16 a[132:135], a[106:107], v[84:85], a[132:135]// 0000000079B8: D3E18084 0E12A96A
	ds_write_b32 v19, v105 offset:14112                        // 0000000079C0: D81A3720 00006913
	v_mfma_f32_16x16x16_bf16 a[136:139], a[108:109], v[84:85], a[136:139]// 0000000079C8: D3E18088 0E22A96C
	global_atomic_pk_add_bf16 v12, v159, s[32:33]              // 0000000079D0: DD488000 00209F0C
	v_mfma_f32_16x16x16_bf16 a[140:143], a[110:111], v[84:85], a[140:143]// 0000000079D8: D3E1808C 0E32A96E
	ds_write_b32 v19, v106 offset:15232                        // 0000000079E0: D81A3B80 00006A13
	v_mfma_f32_16x16x16_bf16 a[144:147], a[104:105], v[86:87], a[144:147]// 0000000079E8: D3E18090 0E42AD68
	v_mfma_f32_16x16x16_bf16 a[148:151], a[106:107], v[86:87], a[148:151]// 0000000079F0: D3E18094 0E52AD6A
	ds_write_b32 v19, v107 offset:16288                        // 0000000079F8: D81A3FA0 00006B13
	v_mfma_f32_16x16x16_bf16 a[152:155], a[108:109], v[86:87], a[152:155]// 000000007A00: D3E18098 0E62AD6C
	v_mfma_f32_16x16x16_bf16 a[156:159], a[110:111], v[86:87], a[156:159]// 000000007A08: D3E1809C 0E72AD6E
	s_waitcnt vmcnt(4) lgkmcnt(4)                              // 000000007A10: BF8C0474
	s_barrier                                                  // 000000007A14: BF8A0000
	v_mfma_f32_16x16x16_bf16 v[148:151], a[24:25], v[52:53], 0 // 000000007A18: D3E10094 0A026918
	v_mul_f32_e32 v140, s49, v140                              // 000000007A20: 0B191831
	v_mul_f32_e32 v144, s49, v144                              // 000000007A24: 0B212031
	s_nop 0                                                    // 000000007A28: BF800000
	v_mfma_f32_16x16x16_bf16 v[148:151], a[28:29], v[54:55], v[148:151]// 000000007A2C: D3E10094 0E526D1C
	ds_read_b128 a[96:99], v16                                 // 000000007A34: DBFE0000 60000010
	buffer_load_dword v36, v1, s[8:11], 0 idxen                // 000000007A3C: E0502000 80022401
	v_mfma_f32_16x16x16_bf16 v[148:151], a[32:33], v[56:57], v[148:151]// 000000007A44: D3E10094 0E527120
	v_mfma_f32_16x16x16_bf16 v[148:151], a[36:37], v[58:59], v[148:151]// 000000007A4C: D3E10094 0E527524
	ds_read_b128 a[100:103], v16 offset:512                    // 000000007A54: DBFE0200 64000010
	buffer_load_dword v37, v2, s[8:11], 0 idxen                // 000000007A5C: E0502000 80022502
	v_mfma_f32_16x16x16_bf16 v[148:151], a[40:41], v[60:61], v[148:151]// 000000007A64: D3E10094 0E527928
	v_perm_b32 v100, v41, v40, s63                             // 000000007A6C: D1ED0064 00FE5129
	v_perm_b32 v101, v41, v40, s64                             // 000000007A74: D1ED0065 01025129
	v_mfma_f32_16x16x16_bf16 v[148:151], a[44:45], v[62:63], v[148:151]// 000000007A7C: D3E10094 0E527D2C
	ds_read_b128 a[104:107], v16 offset:2176                   // 000000007A84: DBFE0880 68000010
	buffer_load_dword v38, v3, s[8:11], 0 idxen                // 000000007A8C: E0502000 80022603
	v_mfma_f32_16x16x16_bf16 v[148:151], a[48:49], v[64:65], v[148:151]// 000000007A94: D3E10094 0E528130
	v_perm_b32 v102, v43, v42, s63                             // 000000007A9C: D1ED0066 00FE552B
	v_perm_b32 v103, v43, v42, s64                             // 000000007AA4: D1ED0067 0102552B
	v_mfma_f32_16x16x16_bf16 v[148:151], a[52:53], v[66:67], v[148:151]// 000000007AAC: D3E10094 0E528534
	ds_read_b128 a[108:111], v16 offset:2688                   // 000000007AB4: DBFE0A80 6C000010
	buffer_load_dword v39, v4, s[8:11], 0 idxen                // 000000007ABC: E0502000 80022704
	v_mfma_f32_16x16x16_bf16 v[148:151], a[56:57], v[68:69], v[148:151]// 000000007AC4: D3E10094 0E528938
	v_perm_b32 v104, v49, v48, s63                             // 000000007ACC: D1ED0068 00FE6131
	v_perm_b32 v105, v49, v48, s64                             // 000000007AD4: D1ED0069 01026131
	v_mfma_f32_16x16x16_bf16 v[148:151], a[60:61], v[70:71], v[148:151]// 000000007ADC: D3E10094 0E528D3C
	ds_read_b128 v[108:111], v16 offset:8704                   // 000000007AE4: D9FE2200 6C000010
	buffer_load_dword v44, v1, s[20:23], 0 idxen               // 000000007AEC: E0502000 80052C01
	v_mfma_f32_16x16x16_bf16 v[148:151], a[64:65], v[72:73], v[148:151]// 000000007AF4: D3E10094 0E529140
	v_perm_b32 v106, v51, v50, s63                             // 000000007AFC: D1ED006A 00FE6533
	v_perm_b32 v107, v51, v50, s64                             // 000000007B04: D1ED006B 01026533
	v_mfma_f32_16x16x16_bf16 v[148:151], a[68:69], v[74:75], v[148:151]// 000000007B0C: D3E10094 0E529544
	ds_read_b128 v[112:115], v16 offset:9216                   // 000000007B14: D9FE2400 70000010
	buffer_load_dword v45, v2, s[20:23], 0 idxen               // 000000007B1C: E0502000 80052D02
	v_mfma_f32_16x16x16_bf16 v[152:155], a[26:27], v[52:53], 0 // 000000007B24: D3E10098 0A02691A
	v_mov_b32_dpp v143, v140 quad_perm:[3,3,3,3] row_mask:0xf bank_mask:0xf// 000000007B2C: 7F1E02FA FF00FF8C
	v_mov_b32_dpp v142, v140 quad_perm:[2,2,2,2] row_mask:0xf bank_mask:0xf// 000000007B34: 7F1C02FA FF00AA8C
	v_mov_b32_dpp v141, v140 quad_perm:[1,1,1,1] row_mask:0xf bank_mask:0xf// 000000007B3C: 7F1A02FA FF00558C
	v_mov_b32_dpp v140, v140 quad_perm:[0,0,0,0] row_mask:0xf bank_mask:0xf// 000000007B44: 7F1802FA FF00008C
	v_mfma_f32_16x16x16_bf16 v[152:155], a[30:31], v[54:55], v[152:155]// 000000007B4C: D3E10098 0E626D1E
	ds_read_b128 v[116:119], v16 offset:10880                  // 000000007B54: D9FE2A80 74000010
	buffer_load_dword v46, v3, s[20:23], 0 idxen               // 000000007B5C: E0502000 80052E03
	v_mfma_f32_16x16x16_bf16 v[152:155], a[34:35], v[56:57], v[152:155]// 000000007B64: D3E10098 0E627122
	v_mov_b32_dpp v147, v144 quad_perm:[3,3,3,3] row_mask:0xf bank_mask:0xf// 000000007B6C: 7F2602FA FF00FF90
	v_mov_b32_dpp v146, v144 quad_perm:[2,2,2,2] row_mask:0xf bank_mask:0xf// 000000007B74: 7F2402FA FF00AA90
	v_mov_b32_dpp v145, v144 quad_perm:[1,1,1,1] row_mask:0xf bank_mask:0xf// 000000007B7C: 7F2202FA FF005590
	v_mov_b32_dpp v144, v144 quad_perm:[0,0,0,0] row_mask:0xf bank_mask:0xf// 000000007B84: 7F2002FA FF000090
	s_add_u32 s60, 0x80, s59                                   // 000000007B8C: 803C3BFF 00000080
	v_mfma_f32_16x16x16_bf16 v[152:155], a[38:39], v[58:59], v[152:155]// 000000007B94: D3E10098 0E627526
	ds_read_b128 v[120:123], v16 offset:11392                  // 000000007B9C: D9FE2C80 78000010
	buffer_load_dword v47, v4, s[20:23], 0 idxen               // 000000007BA4: E0502000 80052F04
	v_mfma_f32_16x16x16_bf16 v[152:155], a[42:43], v[60:61], v[152:155]// 000000007BAC: D3E10098 0E62792A
	s_cmp_lt_u32 s60, s58                                      // 000000007BB4: BF0A3A3C
	s_cselect_b32 s68, s68, 0                                  // 000000007BB8: 85448044
	s_cselect_b32 s69, s69, 0                                  // 000000007BBC: 85458045
	v_mfma_f32_16x16x16_bf16 v[152:155], a[46:47], v[62:63], v[152:155]// 000000007BC0: D3E10098 0E627D2E
	buffer_load_dword v15, s[24:27], 0 idxen lds               // 000000007BC8: E0512000 8006000F
	v_mfma_f32_16x16x16_bf16 v[152:155], a[50:51], v[64:65], v[152:155]// 000000007BD0: D3E10098 0E628132
	s_add_u32 s8, s68, s8                                      // 000000007BD8: 80080844
	s_addc_u32 s9, 0, s9                                       // 000000007BDC: 82090980
	v_mfma_f32_16x16x16_bf16 v[152:155], a[54:55], v[66:67], v[152:155]// 000000007BE0: D3E10098 0E628536
	s_add_u32 s20, s68, s20                                    // 000000007BE8: 80141444
	s_addc_u32 s21, 0, s21                                     // 000000007BEC: 82151580
	v_mfma_f32_16x16x16_bf16 v[152:155], a[58:59], v[68:69], v[152:155]// 000000007BF0: D3E10098 0E62893A
	s_mov_b32 m0, s77                                          // 000000007BF8: BEFC004D
	v_add_u32_e32 v15, s69, v15                                // 000000007BFC: 681E1E45
	v_mfma_f32_16x16x16_bf16 v[152:155], a[62:63], v[70:71], v[152:155]// 000000007C00: D3E10098 0E628D3E
	s_cmp_ge_u32 s59, 32                                       // 000000007C08: BF09A03B
	s_cselect_b32 s66, s67, s66                                // 000000007C0C: 85424243
	v_mfma_f32_16x16x16_bf16 v[152:155], a[66:67], v[72:73], v[152:155]// 000000007C10: D3E10098 0E629142
	s_addk_i32 s59, 0x20                                       // 000000007C18: B73B0020
	s_nop 0                                                    // 000000007C1C: BF800000
	s_cmp_lt_i32 s59, s58                                      // 000000007C20: BF043A3B
	v_mfma_f32_16x16x16_bf16 v[152:155], a[70:71], v[74:75], v[152:155]// 000000007C24: D3E10098 0E629546
	s_cbranch_scc0 label_0F0D                                  // 000000007C2C: BF840001
	s_branch label_0596                                        // 000000007C30: BF82F689

0000000000007c34 <label_0F0D>:
	s_nop 0                                                    // 000000007C34: BF800000
	s_nop 0                                                    // 000000007C38: BF800000
	s_branch label_1887                                        // 000000007C3C: BF820977

0000000000007c40 <label_0F10>:
	s_waitcnt lgkmcnt(4)                                       // 000000007C40: BF8CC47F
	s_barrier                                                  // 000000007C44: BF8A0000
	v_mfma_f32_16x16x16_bf16 v[52:55], a[96:97], a[0:1], 0     // 000000007C48: D3E10034 1A020160
	v_mul_f32_e32 v148, s48, v148                              // 000000007C50: 0B292830
	v_mul_f32_e32 v149, s48, v149                              // 000000007C54: 0B2B2A30
	v_mfma_f32_16x16x16_bf16 v[52:55], a[98:99], a[2:3], v[52:55]// 000000007C58: D3E10034 1CD20562
	ds_write_b32 v17, v48 offset:8704                          // 000000007C60: D81A2200 00003011
	ds_write_b32 v17, v49 offset:9760                          // 000000007C68: D81A2620 00003111
	v_mfma_f32_16x16x16_bf16 v[52:55], a[100:101], a[4:5], v[52:55]// 000000007C70: D3E10034 1CD20964
	v_mul_f32_e32 v150, s48, v150                              // 000000007C78: 0B2D2C30
	v_mul_f32_e32 v151, s48, v151                              // 000000007C7C: 0B2F2E30
	v_mfma_f32_16x16x16_bf16 v[52:55], a[102:103], a[6:7], v[52:55]// 000000007C80: D3E10034 1CD20D66
	ds_write_b32 v17, v50 offset:10880                         // 000000007C88: D81A2A80 00003211
	ds_write_b32 v17, v51 offset:11936                         // 000000007C90: D81A2EA0 00003311
	v_mfma_f32_16x16x16_bf16 v[56:59], a[96:97], a[8:9], 0     // 000000007C98: D3E10038 1A021160
	v_mul_f32_e32 v152, s48, v152                              // 000000007CA0: 0B313030
	v_mul_f32_e32 v153, s48, v153                              // 000000007CA4: 0B333230
	v_mfma_f32_16x16x16_bf16 v[56:59], a[98:99], a[10:11], v[56:59]// 000000007CA8: D3E10038 1CE21562
	v_mul_f32_e32 v154, s48, v154                              // 000000007CB0: 0B353430
	v_mul_f32_e32 v155, s48, v155                              // 000000007CB4: 0B373630
	v_mfma_f32_16x16x16_bf16 v[56:59], a[100:101], a[12:13], v[56:59]// 000000007CB8: D3E10038 1CE21964
	v_cmp_u_f32_e64 s[74:75], v148, v148                       // 000000007CC0: D048004A 00032994
	v_bfe_u32 v226, v148, 16, 1                                // 000000007CC8: D1C800E2 02052194
	v_add3_u32 v226, v148, v226, v229                          // 000000007CD0: D1FF00E2 0797C594
	v_cndmask_b32_e64 v32, v226, v228, s[74:75]                // 000000007CD8: D1000020 012BC9E2
	v_lshrrev_b32_e32 v32, 16, v32                             // 000000007CE0: 20404090
	v_cmp_u_f32_e64 s[74:75], v149, v149                       // 000000007CE4: D048004A 00032B95
	v_bfe_u32 v226, v149, 16, 1                                // 000000007CEC: D1C800E2 02052195
	v_add3_u32 v226, v149, v226, v229                          // 000000007CF4: D1FF00E2 0797C595
	v_cndmask_b32_e64 v33, v226, v228, s[74:75]                // 000000007CFC: D1000021 012BC9E2
	v_and_or_b32 v148, v33, v227, v32                          // 000000007D04: D2010094 0483C721
	v_cmp_u_f32_e64 s[74:75], v150, v150                       // 000000007D0C: D048004A 00032D96
	v_bfe_u32 v226, v150, 16, 1                                // 000000007D14: D1C800E2 02052196
	v_add3_u32 v226, v150, v226, v229                          // 000000007D1C: D1FF00E2 0797C596
	v_cndmask_b32_e64 v32, v226, v228, s[74:75]                // 000000007D24: D1000020 012BC9E2
	v_lshrrev_b32_e32 v32, 16, v32                             // 000000007D2C: 20404090
	v_cmp_u_f32_e64 s[74:75], v151, v151                       // 000000007D30: D048004A 00032F97
	v_bfe_u32 v226, v151, 16, 1                                // 000000007D38: D1C800E2 02052197
	v_add3_u32 v226, v151, v226, v229                          // 000000007D40: D1FF00E2 0797C597
	v_cndmask_b32_e64 v33, v226, v228, s[74:75]                // 000000007D48: D1000021 012BC9E2
	v_and_or_b32 v149, v33, v227, v32                          // 000000007D50: D2010095 0483C721
	v_mfma_f32_16x16x16_bf16 v[56:59], a[102:103], a[14:15], v[56:59]// 000000007D58: D3E10038 1CE21D66
	v_cmp_u_f32_e64 s[74:75], v152, v152                       // 000000007D60: D048004A 00033198
	v_bfe_u32 v226, v152, 16, 1                                // 000000007D68: D1C800E2 02052198
	v_add3_u32 v226, v152, v226, v229                          // 000000007D70: D1FF00E2 0797C598
	v_cndmask_b32_e64 v32, v226, v228, s[74:75]                // 000000007D78: D1000020 012BC9E2
	v_lshrrev_b32_e32 v32, 16, v32                             // 000000007D80: 20404090
	v_cmp_u_f32_e64 s[74:75], v153, v153                       // 000000007D84: D048004A 00033399
	v_bfe_u32 v226, v153, 16, 1                                // 000000007D8C: D1C800E2 02052199
	v_add3_u32 v226, v153, v226, v229                          // 000000007D94: D1FF00E2 0797C599
	v_cndmask_b32_e64 v33, v226, v228, s[74:75]                // 000000007D9C: D1000021 012BC9E2
	v_and_or_b32 v150, v33, v227, v32                          // 000000007DA4: D2010096 0483C721
	v_cmp_u_f32_e64 s[74:75], v154, v154                       // 000000007DAC: D048004A 0003359A
	v_bfe_u32 v226, v154, 16, 1                                // 000000007DB4: D1C800E2 0205219A
	v_add3_u32 v226, v154, v226, v229                          // 000000007DBC: D1FF00E2 0797C59A
	v_cndmask_b32_e64 v32, v226, v228, s[74:75]                // 000000007DC4: D1000020 012BC9E2
	v_lshrrev_b32_e32 v32, 16, v32                             // 000000007DCC: 20404090
	v_cmp_u_f32_e64 s[74:75], v155, v155                       // 000000007DD0: D048004A 0003379B
	v_bfe_u32 v226, v155, 16, 1                                // 000000007DD8: D1C800E2 0205219B
	v_add3_u32 v226, v155, v226, v229                          // 000000007DE0: D1FF00E2 0797C59B
	v_cndmask_b32_e64 v33, v226, v228, s[74:75]                // 000000007DE8: D1000021 012BC9E2
	v_and_or_b32 v151, v33, v227, v32                          // 000000007DF0: D2010097 0483C721
	v_mfma_f32_16x16x16_bf16 v[60:63], a[96:97], a[16:17], 0   // 000000007DF8: D3E1003C 1A022160
	v_mfma_f32_16x16x16_bf16 v[60:63], a[98:99], a[18:19], v[60:63]// 000000007E00: D3E1003C 1CF22562
	ds_write_b64 v26, v[148:149] offset:31232                  // 000000007E08: D89A7A00 0000941A
	v_mfma_f32_16x16x16_bf16 v[60:63], a[100:101], a[20:21], v[60:63]// 000000007E10: D3E1003C 1CF22964
	v_mfma_f32_16x16x16_bf16 v[60:63], a[102:103], a[22:23], v[60:63]// 000000007E18: D3E1003C 1CF22D66
	ds_write_b64 v26, v[150:151] offset:31776                  // 000000007E20: D89A7C20 0000961A
	v_mfma_f32_16x16x16_bf16 v[64:67], a[104:105], a[0:1], 0   // 000000007E28: D3E10040 1A020168
	v_mfma_f32_16x16x16_bf16 v[64:67], a[106:107], a[2:3], v[64:67]// 000000007E30: D3E10040 1D02056A
	ds_read_b128 v[124:127], v18 offset:13056                  // 000000007E38: D9FE3300 7C000012
	ds_write_b32 v17, v40                                      // 000000007E40: D81A0000 00002811
	v_mfma_f32_16x16x16_bf16 v[64:67], a[108:109], a[4:5], v[64:67]// 000000007E48: D3E10040 1D02096C
	v_mfma_f32_16x16x16_bf16 v[64:67], a[110:111], a[6:7], v[64:67]// 000000007E50: D3E10040 1D020D6E
	v_mfma_f32_16x16x16_bf16 v[68:71], a[104:105], a[8:9], 0   // 000000007E58: D3E10044 1A021168
	ds_read_b128 v[128:131], v18 offset:13568                  // 000000007E60: D9FE3500 80000012
	ds_write_b32 v17, v41 offset:1056                          // 000000007E68: D81A0420 00002911
	v_mfma_f32_16x16x16_bf16 v[68:71], a[106:107], a[10:11], v[68:71]// 000000007E70: D3E10044 1D12156A
	v_mfma_f32_16x16x16_bf16 v[68:71], a[108:109], a[12:13], v[68:71]// 000000007E78: D3E10044 1D12196C
	v_mfma_f32_16x16x16_bf16 v[68:71], a[110:111], a[14:15], v[68:71]// 000000007E80: D3E10044 1D121D6E
	ds_read_b128 v[132:135], v18 offset:15232                  // 000000007E88: D9FE3B80 84000012
	ds_write_b32 v17, v42 offset:2176                          // 000000007E90: D81A0880 00002A11
	v_mfma_f32_16x16x16_bf16 v[72:75], a[104:105], a[16:17], 0 // 000000007E98: D3E10048 1A022168
	v_mfma_f32_16x16x16_bf16 v[72:75], a[106:107], a[18:19], v[72:75]// 000000007EA0: D3E10048 1D22256A
	v_mfma_f32_16x16x16_bf16 v[72:75], a[108:109], a[20:21], v[72:75]// 000000007EA8: D3E10048 1D22296C
	ds_read_b128 v[136:139], v18 offset:15744                  // 000000007EB0: D9FE3D80 88000012
	ds_write_b32 v17, v43 offset:3232                          // 000000007EB8: D81A0CA0 00002B11
	v_mfma_f32_16x16x16_bf16 v[72:75], a[110:111], a[22:23], v[72:75]// 000000007EC0: D3E10048 1D222D6E
	s_cmp_lt_i32 s73, 3                                        // 000000007EC8: BF048349
	s_cbranch_scc0 label_0FCB                                  // 000000007ECC: BF840017
	s_cmp_eq_i32 s73, 1                                        // 000000007ED0: BF008149
	s_cbranch_scc1 label_0FB9                                  // 000000007ED4: BF850003
	s_cmp_eq_i32 s73, 2                                        // 000000007ED8: BF008249
	s_cbranch_scc1 label_0FC2                                  // 000000007EDC: BF85000A
	s_branch label_0FCB                                        // 000000007EE0: BF820012

0000000000007ee4 <label_0FB9>:
	v_mov_b32_e32 v56, v230                                    // 000000007EE4: 7E7003E6
	v_mov_b32_e32 v68, v230                                    // 000000007EE8: 7E8803E6
	v_mov_b32_e32 v57, v230                                    // 000000007EEC: 7E7203E6
	v_mov_b32_e32 v69, v230                                    // 000000007EF0: 7E8A03E6
	v_mov_b32_e32 v58, v230                                    // 000000007EF4: 7E7403E6
	v_mov_b32_e32 v70, v230                                    // 000000007EF8: 7E8C03E6
	v_mov_b32_e32 v59, v230                                    // 000000007EFC: 7E7603E6
	v_mov_b32_e32 v71, v230                                    // 000000007F00: 7E8E03E6
	s_branch label_0FC2                                        // 000000007F04: BF820000

0000000000007f08 <label_0FC2>:
	v_mov_b32_e32 v60, v230                                    // 000000007F08: 7E7803E6
	v_mov_b32_e32 v72, v230                                    // 000000007F0C: 7E9003E6
	v_mov_b32_e32 v61, v230                                    // 000000007F10: 7E7A03E6
	v_mov_b32_e32 v73, v230                                    // 000000007F14: 7E9203E6
	v_mov_b32_e32 v62, v230                                    // 000000007F18: 7E7C03E6
	v_mov_b32_e32 v74, v230                                    // 000000007F1C: 7E9403E6
	v_mov_b32_e32 v63, v230                                    // 000000007F20: 7E7E03E6
	v_mov_b32_e32 v75, v230                                    // 000000007F24: 7E9603E6
	s_branch label_0FCB                                        // 000000007F28: BF820000

0000000000007f2c <label_0FCB>:
	s_waitcnt lgkmcnt(8)                                       // 000000007F2C: BF8CC87F
	s_barrier                                                  // 000000007F30: BF8A0000
	v_mfma_f32_16x16x16_bf16 v[76:79], v[108:109], a[72:73], 0 // 000000007F34: D3E1004C 1202916C
	v_fma_f32 v52, v52, s57, -v140                             // 000000007F3C: D1CB0034 86307334
	v_fma_f32 v53, v53, s57, -v141                             // 000000007F44: D1CB0035 86347335
	v_fma_f32 v54, v54, s57, -v142                             // 000000007F4C: D1CB0036 86387336
	v_fma_f32 v55, v55, s57, -v143                             // 000000007F54: D1CB0037 863C7337
	v_fma_f32 v56, v56, s57, -v140                             // 000000007F5C: D1CB0038 86307338
	v_fma_f32 v57, v57, s57, -v141                             // 000000007F64: D1CB0039 86347339
	v_mfma_f32_16x16x16_bf16 v[76:79], v[110:111], a[74:75], v[76:79]// 000000007F6C: D3E1004C 1532956E
	ds_read_b128 a[96:99], v18 offset:4352                     // 000000007F74: DBFE1100 60000012
	ds_read_b128 a[100:103], v18 offset:4864                   // 000000007F7C: DBFE1300 64000012
	v_mfma_f32_16x16x16_bf16 v[76:79], v[112:113], a[76:77], v[76:79]// 000000007F84: D3E1004C 15329970
	v_fma_f32 v58, v58, s57, -v142                             // 000000007F8C: D1CB003A 8638733A
	v_fma_f32 v59, v59, s57, -v143                             // 000000007F94: D1CB003B 863C733B
	v_fma_f32 v60, v60, s57, -v140                             // 000000007F9C: D1CB003C 8630733C
	v_fma_f32 v61, v61, s57, -v141                             // 000000007FA4: D1CB003D 8634733D
	v_fma_f32 v62, v62, s57, -v142                             // 000000007FAC: D1CB003E 8638733E
	v_fma_f32 v63, v63, s57, -v143                             // 000000007FB4: D1CB003F 863C733F
	v_mfma_f32_16x16x16_bf16 v[76:79], v[114:115], a[78:79], v[76:79]// 000000007FBC: D3E1004C 15329D72
	v_fma_f32 v64, v64, s57, -v144                             // 000000007FC4: D1CB0040 86407340
	v_fma_f32 v65, v65, s57, -v145                             // 000000007FCC: D1CB0041 86447341
	v_fma_f32 v66, v66, s57, -v146                             // 000000007FD4: D1CB0042 86487342
	v_fma_f32 v67, v67, s57, -v147                             // 000000007FDC: D1CB0043 864C7343
	v_fma_f32 v68, v68, s57, -v144                             // 000000007FE4: D1CB0044 86407344
	v_fma_f32 v69, v69, s57, -v145                             // 000000007FEC: D1CB0045 86447345
	v_mfma_f32_16x16x16_bf16 v[80:83], v[108:109], a[80:81], 0 // 000000007FF4: D3E10050 1202A16C
	v_fma_f32 v70, v70, s57, -v146                             // 000000007FFC: D1CB0046 86487346
	v_fma_f32 v71, v71, s57, -v147                             // 000000008004: D1CB0047 864C7347
	v_fma_f32 v72, v72, s57, -v144                             // 00000000800C: D1CB0048 86407348
	v_fma_f32 v73, v73, s57, -v145                             // 000000008014: D1CB0049 86447349
	v_fma_f32 v74, v74, s57, -v146                             // 00000000801C: D1CB004A 8648734A
	v_fma_f32 v75, v75, s57, -v147                             // 000000008024: D1CB004B 864C734B
	v_mfma_f32_16x16x16_bf16 v[80:83], v[110:111], a[82:83], v[80:83]// 00000000802C: D3E10050 1542A56E
	ds_read_b128 a[104:107], v18 offset:6528                   // 000000008034: DBFE1980 68000012
	ds_read_b128 a[108:111], v18 offset:7040                   // 00000000803C: DBFE1B80 6C000012
	v_mfma_f32_16x16x16_bf16 v[80:83], v[112:113], a[84:85], v[80:83]// 000000008044: D3E10050 1542A970
	v_exp_f32_e32 v52, v52                                     // 00000000804C: 7E684134
	v_exp_f32_e32 v53, v53                                     // 000000008050: 7E6A4135
	v_mfma_f32_16x16x16_bf16 v[80:83], v[114:115], a[86:87], v[80:83]// 000000008054: D3E10050 1542AD72
	v_exp_f32_e32 v54, v54                                     // 00000000805C: 7E6C4136
	v_exp_f32_e32 v55, v55                                     // 000000008060: 7E6E4137
	v_mfma_f32_16x16x16_bf16 v[84:87], v[108:109], a[88:89], 0 // 000000008064: D3E10054 1202B16C
	v_exp_f32_e32 v56, v56                                     // 00000000806C: 7E704138
	v_exp_f32_e32 v57, v57                                     // 000000008070: 7E724139
	v_mfma_f32_16x16x16_bf16 v[84:87], v[110:111], a[90:91], v[84:87]// 000000008074: D3E10054 1552B56E
	ds_read_b32 v156, v25 offset:31232                         // 00000000807C: D86C7A00 9C000019
	ds_read_b32 v157, v25 offset:31248                         // 000000008084: D86C7A10 9D000019
	v_mfma_f32_16x16x16_bf16 v[84:87], v[112:113], a[92:93], v[84:87]// 00000000808C: D3E10054 1552B970
	v_exp_f32_e32 v58, v58                                     // 000000008094: 7E74413A
	v_exp_f32_e32 v59, v59                                     // 000000008098: 7E76413B
	v_mfma_f32_16x16x16_bf16 v[84:87], v[114:115], a[94:95], v[84:87]// 00000000809C: D3E10054 1552BD72
	ds_read_b32 v158, v25 offset:31264                         // 0000000080A4: D86C7A20 9E000019
	ds_read_b32 v159, v25 offset:31280                         // 0000000080AC: D86C7A30 9F000019
	v_mfma_f32_16x16x16_bf16 v[88:91], v[116:117], a[72:73], 0 // 0000000080B4: D3E10058 12029174
	v_exp_f32_e32 v60, v60                                     // 0000000080BC: 7E78413C
	v_exp_f32_e32 v61, v61                                     // 0000000080C0: 7E7A413D
	v_mfma_f32_16x16x16_bf16 v[88:91], v[118:119], a[74:75], v[88:91]// 0000000080C4: D3E10058 15629576
	v_exp_f32_e32 v62, v62                                     // 0000000080CC: 7E7C413E
	v_exp_f32_e32 v63, v63                                     // 0000000080D0: 7E7E413F
	v_mfma_f32_16x16x16_bf16 v[88:91], v[120:121], a[76:77], v[88:91]// 0000000080D4: D3E10058 15629978
	v_exp_f32_e32 v64, v64                                     // 0000000080DC: 7E804140
	v_exp_f32_e32 v65, v65                                     // 0000000080E0: 7E824141
	v_mfma_f32_16x16x16_bf16 v[88:91], v[122:123], a[78:79], v[88:91]// 0000000080E4: D3E10058 15629D7A
	v_exp_f32_e32 v66, v66                                     // 0000000080EC: 7E844142
	v_exp_f32_e32 v67, v67                                     // 0000000080F0: 7E864143
	v_mfma_f32_16x16x16_bf16 v[92:95], v[116:117], a[80:81], 0 // 0000000080F4: D3E1005C 1202A174
	v_exp_f32_e32 v68, v68                                     // 0000000080FC: 7E884144
	v_exp_f32_e32 v69, v69                                     // 000000008100: 7E8A4145
	v_mfma_f32_16x16x16_bf16 v[92:95], v[118:119], a[82:83], v[92:95]// 000000008104: D3E1005C 1572A576
	v_exp_f32_e32 v70, v70                                     // 00000000810C: 7E8C4146
	v_exp_f32_e32 v71, v71                                     // 000000008110: 7E8E4147
	v_mfma_f32_16x16x16_bf16 v[92:95], v[120:121], a[84:85], v[92:95]// 000000008114: D3E1005C 1572A978
	v_exp_f32_e32 v72, v72                                     // 00000000811C: 7E904148
	v_exp_f32_e32 v73, v73                                     // 000000008120: 7E924149
	v_mfma_f32_16x16x16_bf16 v[92:95], v[122:123], a[86:87], v[92:95]// 000000008124: D3E1005C 1572AD7A
	v_exp_f32_e32 v74, v74                                     // 00000000812C: 7E94414A
	v_exp_f32_e32 v75, v75                                     // 000000008130: 7E96414B
	v_mfma_f32_16x16x16_bf16 v[96:99], v[116:117], a[88:89], 0 // 000000008134: D3E10060 1202B174
	v_cmp_u_f32_e64 s[74:75], v52, v52                         // 00000000813C: D048004A 00026934
	v_bfe_u32 v226, v52, 16, 1                                 // 000000008144: D1C800E2 02052134
	v_add3_u32 v226, v52, v226, v229                           // 00000000814C: D1FF00E2 0797C534
	v_cndmask_b32_e64 v32, v226, v228, s[74:75]                // 000000008154: D1000020 012BC9E2
	v_lshrrev_b32_e32 v32, 16, v32                             // 00000000815C: 20404090
	v_cmp_u_f32_e64 s[74:75], v53, v53                         // 000000008160: D048004A 00026B35
	v_bfe_u32 v226, v53, 16, 1                                 // 000000008168: D1C800E2 02052135
	v_add3_u32 v226, v53, v226, v229                           // 000000008170: D1FF00E2 0797C535
	v_cndmask_b32_e64 v33, v226, v228, s[74:75]                // 000000008178: D1000021 012BC9E2
	v_and_or_b32 v164, v33, v227, v32                          // 000000008180: D20100A4 0483C721
	v_cmp_u_f32_e64 s[74:75], v54, v54                         // 000000008188: D048004A 00026D36
	v_bfe_u32 v226, v54, 16, 1                                 // 000000008190: D1C800E2 02052136
	v_add3_u32 v226, v54, v226, v229                           // 000000008198: D1FF00E2 0797C536
	v_cndmask_b32_e64 v32, v226, v228, s[74:75]                // 0000000081A0: D1000020 012BC9E2
	v_lshrrev_b32_e32 v32, 16, v32                             // 0000000081A8: 20404090
	v_cmp_u_f32_e64 s[74:75], v55, v55                         // 0000000081AC: D048004A 00026F37
	v_bfe_u32 v226, v55, 16, 1                                 // 0000000081B4: D1C800E2 02052137
	v_add3_u32 v226, v55, v226, v229                           // 0000000081BC: D1FF00E2 0797C537
	v_cndmask_b32_e64 v33, v226, v228, s[74:75]                // 0000000081C4: D1000021 012BC9E2
	v_and_or_b32 v165, v33, v227, v32                          // 0000000081CC: D20100A5 0483C721
	v_cmp_u_f32_e64 s[74:75], v56, v56                         // 0000000081D4: D048004A 00027138
	v_bfe_u32 v226, v56, 16, 1                                 // 0000000081DC: D1C800E2 02052138
	v_add3_u32 v226, v56, v226, v229                           // 0000000081E4: D1FF00E2 0797C538
	v_cndmask_b32_e64 v32, v226, v228, s[74:75]                // 0000000081EC: D1000020 012BC9E2
	v_lshrrev_b32_e32 v32, 16, v32                             // 0000000081F4: 20404090
	v_cmp_u_f32_e64 s[74:75], v57, v57                         // 0000000081F8: D048004A 00027339
	v_bfe_u32 v226, v57, 16, 1                                 // 000000008200: D1C800E2 02052139
	v_add3_u32 v226, v57, v226, v229                           // 000000008208: D1FF00E2 0797C539
	v_cndmask_b32_e64 v33, v226, v228, s[74:75]                // 000000008210: D1000021 012BC9E2
	v_and_or_b32 v166, v33, v227, v32                          // 000000008218: D20100A6 0483C721
	v_cmp_u_f32_e64 s[74:75], v58, v58                         // 000000008220: D048004A 0002753A
	v_bfe_u32 v226, v58, 16, 1                                 // 000000008228: D1C800E2 0205213A
	v_add3_u32 v226, v58, v226, v229                           // 000000008230: D1FF00E2 0797C53A
	v_cndmask_b32_e64 v32, v226, v228, s[74:75]                // 000000008238: D1000020 012BC9E2
	v_lshrrev_b32_e32 v32, 16, v32                             // 000000008240: 20404090
	v_cmp_u_f32_e64 s[74:75], v59, v59                         // 000000008244: D048004A 0002773B
	v_bfe_u32 v226, v59, 16, 1                                 // 00000000824C: D1C800E2 0205213B
	v_add3_u32 v226, v59, v226, v229                           // 000000008254: D1FF00E2 0797C53B
	v_cndmask_b32_e64 v33, v226, v228, s[74:75]                // 00000000825C: D1000021 012BC9E2
	v_and_or_b32 v167, v33, v227, v32                          // 000000008264: D20100A7 0483C721
	v_cmp_u_f32_e64 s[74:75], v60, v60                         // 00000000826C: D048004A 0002793C
	v_bfe_u32 v226, v60, 16, 1                                 // 000000008274: D1C800E2 0205213C
	v_add3_u32 v226, v60, v226, v229                           // 00000000827C: D1FF00E2 0797C53C
	v_cndmask_b32_e64 v32, v226, v228, s[74:75]                // 000000008284: D1000020 012BC9E2
	v_lshrrev_b32_e32 v32, 16, v32                             // 00000000828C: 20404090
	v_cmp_u_f32_e64 s[74:75], v61, v61                         // 000000008290: D048004A 00027B3D
	v_bfe_u32 v226, v61, 16, 1                                 // 000000008298: D1C800E2 0205213D
	v_add3_u32 v226, v61, v226, v229                           // 0000000082A0: D1FF00E2 0797C53D
	v_cndmask_b32_e64 v33, v226, v228, s[74:75]                // 0000000082A8: D1000021 012BC9E2
	v_and_or_b32 v168, v33, v227, v32                          // 0000000082B0: D20100A8 0483C721
	v_cmp_u_f32_e64 s[74:75], v62, v62                         // 0000000082B8: D048004A 00027D3E
	v_bfe_u32 v226, v62, 16, 1                                 // 0000000082C0: D1C800E2 0205213E
	v_add3_u32 v226, v62, v226, v229                           // 0000000082C8: D1FF00E2 0797C53E
	v_cndmask_b32_e64 v32, v226, v228, s[74:75]                // 0000000082D0: D1000020 012BC9E2
	v_lshrrev_b32_e32 v32, 16, v32                             // 0000000082D8: 20404090
	v_cmp_u_f32_e64 s[74:75], v63, v63                         // 0000000082DC: D048004A 00027F3F
	v_bfe_u32 v226, v63, 16, 1                                 // 0000000082E4: D1C800E2 0205213F
	v_add3_u32 v226, v63, v226, v229                           // 0000000082EC: D1FF00E2 0797C53F
	v_cndmask_b32_e64 v33, v226, v228, s[74:75]                // 0000000082F4: D1000021 012BC9E2
	v_and_or_b32 v169, v33, v227, v32                          // 0000000082FC: D20100A9 0483C721
	v_mfma_f32_16x16x16_bf16 v[96:99], v[118:119], a[90:91], v[96:99]// 000000008304: D3E10060 1582B576
	v_cmp_u_f32_e64 s[74:75], v64, v64                         // 00000000830C: D048004A 00028140
	v_bfe_u32 v226, v64, 16, 1                                 // 000000008314: D1C800E2 02052140
	v_add3_u32 v226, v64, v226, v229                           // 00000000831C: D1FF00E2 0797C540
	v_cndmask_b32_e64 v32, v226, v228, s[74:75]                // 000000008324: D1000020 012BC9E2
	v_lshrrev_b32_e32 v32, 16, v32                             // 00000000832C: 20404090
	v_cmp_u_f32_e64 s[74:75], v65, v65                         // 000000008330: D048004A 00028341
	v_bfe_u32 v226, v65, 16, 1                                 // 000000008338: D1C800E2 02052141
	v_add3_u32 v226, v65, v226, v229                           // 000000008340: D1FF00E2 0797C541
	v_cndmask_b32_e64 v33, v226, v228, s[74:75]                // 000000008348: D1000021 012BC9E2
	v_and_or_b32 v170, v33, v227, v32                          // 000000008350: D20100AA 0483C721
	v_cmp_u_f32_e64 s[74:75], v66, v66                         // 000000008358: D048004A 00028542
	v_bfe_u32 v226, v66, 16, 1                                 // 000000008360: D1C800E2 02052142
	v_add3_u32 v226, v66, v226, v229                           // 000000008368: D1FF00E2 0797C542
	v_cndmask_b32_e64 v32, v226, v228, s[74:75]                // 000000008370: D1000020 012BC9E2
	v_lshrrev_b32_e32 v32, 16, v32                             // 000000008378: 20404090
	v_cmp_u_f32_e64 s[74:75], v67, v67                         // 00000000837C: D048004A 00028743
	v_bfe_u32 v226, v67, 16, 1                                 // 000000008384: D1C800E2 02052143
	v_add3_u32 v226, v67, v226, v229                           // 00000000838C: D1FF00E2 0797C543
	v_cndmask_b32_e64 v33, v226, v228, s[74:75]                // 000000008394: D1000021 012BC9E2
	v_and_or_b32 v171, v33, v227, v32                          // 00000000839C: D20100AB 0483C721
	v_cmp_u_f32_e64 s[74:75], v68, v68                         // 0000000083A4: D048004A 00028944
	v_bfe_u32 v226, v68, 16, 1                                 // 0000000083AC: D1C800E2 02052144
	v_add3_u32 v226, v68, v226, v229                           // 0000000083B4: D1FF00E2 0797C544
	v_cndmask_b32_e64 v32, v226, v228, s[74:75]                // 0000000083BC: D1000020 012BC9E2
	v_lshrrev_b32_e32 v32, 16, v32                             // 0000000083C4: 20404090
	v_cmp_u_f32_e64 s[74:75], v69, v69                         // 0000000083C8: D048004A 00028B45
	v_bfe_u32 v226, v69, 16, 1                                 // 0000000083D0: D1C800E2 02052145
	v_add3_u32 v226, v69, v226, v229                           // 0000000083D8: D1FF00E2 0797C545
	v_cndmask_b32_e64 v33, v226, v228, s[74:75]                // 0000000083E0: D1000021 012BC9E2
	v_and_or_b32 v172, v33, v227, v32                          // 0000000083E8: D20100AC 0483C721
	v_cmp_u_f32_e64 s[74:75], v70, v70                         // 0000000083F0: D048004A 00028D46
	v_bfe_u32 v226, v70, 16, 1                                 // 0000000083F8: D1C800E2 02052146
	v_add3_u32 v226, v70, v226, v229                           // 000000008400: D1FF00E2 0797C546
	v_cndmask_b32_e64 v32, v226, v228, s[74:75]                // 000000008408: D1000020 012BC9E2
	v_lshrrev_b32_e32 v32, 16, v32                             // 000000008410: 20404090
	v_cmp_u_f32_e64 s[74:75], v71, v71                         // 000000008414: D048004A 00028F47
	v_bfe_u32 v226, v71, 16, 1                                 // 00000000841C: D1C800E2 02052147
	v_add3_u32 v226, v71, v226, v229                           // 000000008424: D1FF00E2 0797C547
	v_cndmask_b32_e64 v33, v226, v228, s[74:75]                // 00000000842C: D1000021 012BC9E2
	v_and_or_b32 v173, v33, v227, v32                          // 000000008434: D20100AD 0483C721
	v_cmp_u_f32_e64 s[74:75], v72, v72                         // 00000000843C: D048004A 00029148
	v_bfe_u32 v226, v72, 16, 1                                 // 000000008444: D1C800E2 02052148
	v_add3_u32 v226, v72, v226, v229                           // 00000000844C: D1FF00E2 0797C548
	v_cndmask_b32_e64 v32, v226, v228, s[74:75]                // 000000008454: D1000020 012BC9E2
	v_lshrrev_b32_e32 v32, 16, v32                             // 00000000845C: 20404090
	v_cmp_u_f32_e64 s[74:75], v73, v73                         // 000000008460: D048004A 00029349
	v_bfe_u32 v226, v73, 16, 1                                 // 000000008468: D1C800E2 02052149
	v_add3_u32 v226, v73, v226, v229                           // 000000008470: D1FF00E2 0797C549
	v_cndmask_b32_e64 v33, v226, v228, s[74:75]                // 000000008478: D1000021 012BC9E2
	v_and_or_b32 v174, v33, v227, v32                          // 000000008480: D20100AE 0483C721
	v_cmp_u_f32_e64 s[74:75], v74, v74                         // 000000008488: D048004A 0002954A
	v_bfe_u32 v226, v74, 16, 1                                 // 000000008490: D1C800E2 0205214A
	v_add3_u32 v226, v74, v226, v229                           // 000000008498: D1FF00E2 0797C54A
	v_cndmask_b32_e64 v32, v226, v228, s[74:75]                // 0000000084A0: D1000020 012BC9E2
	v_lshrrev_b32_e32 v32, 16, v32                             // 0000000084A8: 20404090
	v_cmp_u_f32_e64 s[74:75], v75, v75                         // 0000000084AC: D048004A 0002974B
	v_bfe_u32 v226, v75, 16, 1                                 // 0000000084B4: D1C800E2 0205214B
	v_add3_u32 v226, v75, v226, v229                           // 0000000084BC: D1FF00E2 0797C54B
	v_cndmask_b32_e64 v33, v226, v228, s[74:75]                // 0000000084C4: D1000021 012BC9E2
	v_and_or_b32 v175, v33, v227, v32                          // 0000000084CC: D20100AF 0483C721
	v_mfma_f32_16x16x16_bf16 v[96:99], v[120:121], a[92:93], v[96:99]// 0000000084D4: D3E10060 1582B978
	s_add_u32 s32, s66, s32                                    // 0000000084DC: 80202042
	s_addc_u32 s33, 0, s33                                     // 0000000084E0: 82212180
	v_mfma_f32_16x16x16_bf16 v[96:99], v[122:123], a[94:95], v[96:99]// 0000000084E4: D3E10060 1582BD7A
	s_waitcnt lgkmcnt(0)                                       // 0000000084EC: BF8CC07F
	s_barrier                                                  // 0000000084F0: BF8A0000
	v_mfma_f32_16x16x16_bf16 v[178:181], v[124:125], v[164:165], v[178:181]// 0000000084F4: D3E100B2 06CB497C
	v_subrev_f32_dpp v76, v176, v76 quad_perm:[0,0,0,0] row_mask:0xf bank_mask:0xf// 0000000084FC: 069898FA FF0000B0
	v_subrev_f32_dpp v77, v176, v77 quad_perm:[1,1,1,1] row_mask:0xf bank_mask:0xf// 000000008504: 069A9AFA FF0055B0
	v_subrev_f32_dpp v78, v176, v78 quad_perm:[2,2,2,2] row_mask:0xf bank_mask:0xf// 00000000850C: 069C9CFA FF00AAB0
	v_subrev_f32_dpp v79, v176, v79 quad_perm:[3,3,3,3] row_mask:0xf bank_mask:0xf// 000000008514: 069E9EFA FF00FFB0
	v_subrev_f32_dpp v80, v176, v80 quad_perm:[0,0,0,0] row_mask:0xf bank_mask:0xf// 00000000851C: 06A0A0FA FF0000B0
	v_subrev_f32_dpp v81, v176, v81 quad_perm:[1,1,1,1] row_mask:0xf bank_mask:0xf// 000000008524: 06A2A2FA FF0055B0
	v_mfma_f32_16x16x16_bf16 v[182:185], v[126:127], v[164:165], v[182:185]// 00000000852C: D3E100B6 06DB497E
	v_subrev_f32_dpp v82, v176, v82 quad_perm:[2,2,2,2] row_mask:0xf bank_mask:0xf// 000000008534: 06A4A4FA FF00AAB0
	v_subrev_f32_dpp v83, v176, v83 quad_perm:[3,3,3,3] row_mask:0xf bank_mask:0xf// 00000000853C: 06A6A6FA FF00FFB0
	v_subrev_f32_dpp v84, v176, v84 quad_perm:[0,0,0,0] row_mask:0xf bank_mask:0xf// 000000008544: 06A8A8FA FF0000B0
	v_subrev_f32_dpp v85, v176, v85 quad_perm:[1,1,1,1] row_mask:0xf bank_mask:0xf// 00000000854C: 06AAAAFA FF0055B0
	v_subrev_f32_dpp v86, v176, v86 quad_perm:[2,2,2,2] row_mask:0xf bank_mask:0xf// 000000008554: 06ACACFA FF00AAB0
	v_subrev_f32_dpp v87, v176, v87 quad_perm:[3,3,3,3] row_mask:0xf bank_mask:0xf// 00000000855C: 06AEAEFA FF00FFB0
	v_mfma_f32_16x16x16_bf16 v[186:189], v[128:129], v[164:165], v[186:189]// 000000008564: D3E100BA 06EB4980
	v_mul_f32_e32 v76, v52, v76                                // 00000000856C: 0A989934
	v_mul_f32_e32 v77, v53, v77                                // 000000008570: 0A9A9B35
	v_mul_f32_e32 v78, v54, v78                                // 000000008574: 0A9C9D36
	v_mul_f32_e32 v79, v55, v79                                // 000000008578: 0A9E9F37
	v_mul_f32_e32 v80, v56, v80                                // 00000000857C: 0AA0A138
	v_mul_f32_e32 v81, v57, v81                                // 000000008580: 0AA2A339
	v_mfma_f32_16x16x16_bf16 v[190:193], v[130:131], v[164:165], v[190:193]// 000000008584: D3E100BE 06FB4982
	v_mul_f32_e32 v82, v58, v82                                // 00000000858C: 0AA4A53A
	v_mul_f32_e32 v83, v59, v83                                // 000000008590: 0AA6A73B
	v_mul_f32_e32 v84, v60, v84                                // 000000008594: 0AA8A93C
	v_mul_f32_e32 v85, v61, v85                                // 000000008598: 0AAAAB3D
	v_mul_f32_e32 v86, v62, v86                                // 00000000859C: 0AACAD3E
	v_mul_f32_e32 v87, v63, v87                                // 0000000085A0: 0AAEAF3F
	v_mfma_f32_16x16x16_bf16 v[194:197], v[124:125], v[166:167], v[194:197]// 0000000085A4: D3E100C2 070B4D7C
	v_cmp_u_f32_e64 s[74:75], v76, v76                         // 0000000085AC: D048004A 0002994C
	v_bfe_u32 v226, v76, 16, 1                                 // 0000000085B4: D1C800E2 0205214C
	v_add3_u32 v226, v76, v226, v229                           // 0000000085BC: D1FF00E2 0797C54C
	v_cndmask_b32_e64 v32, v226, v228, s[74:75]                // 0000000085C4: D1000020 012BC9E2
	v_lshrrev_b32_e32 v32, 16, v32                             // 0000000085CC: 20404090
	v_cmp_u_f32_e64 s[74:75], v77, v77                         // 0000000085D0: D048004A 00029B4D
	v_bfe_u32 v226, v77, 16, 1                                 // 0000000085D8: D1C800E2 0205214D
	v_add3_u32 v226, v77, v226, v229                           // 0000000085E0: D1FF00E2 0797C54D
	v_cndmask_b32_e64 v33, v226, v228, s[74:75]                // 0000000085E8: D1000021 012BC9E2
	v_and_or_b32 v76, v33, v227, v32                           // 0000000085F0: D201004C 0483C721
	v_cmp_u_f32_e64 s[74:75], v78, v78                         // 0000000085F8: D048004A 00029D4E
	v_bfe_u32 v226, v78, 16, 1                                 // 000000008600: D1C800E2 0205214E
	v_add3_u32 v226, v78, v226, v229                           // 000000008608: D1FF00E2 0797C54E
	v_cndmask_b32_e64 v32, v226, v228, s[74:75]                // 000000008610: D1000020 012BC9E2
	v_lshrrev_b32_e32 v32, 16, v32                             // 000000008618: 20404090
	v_cmp_u_f32_e64 s[74:75], v79, v79                         // 00000000861C: D048004A 00029F4F
	v_bfe_u32 v226, v79, 16, 1                                 // 000000008624: D1C800E2 0205214F
	v_add3_u32 v226, v79, v226, v229                           // 00000000862C: D1FF00E2 0797C54F
	v_cndmask_b32_e64 v33, v226, v228, s[74:75]                // 000000008634: D1000021 012BC9E2
	v_and_or_b32 v77, v33, v227, v32                           // 00000000863C: D201004D 0483C721
	v_cmp_u_f32_e64 s[74:75], v80, v80                         // 000000008644: D048004A 0002A150
	v_bfe_u32 v226, v80, 16, 1                                 // 00000000864C: D1C800E2 02052150
	v_add3_u32 v226, v80, v226, v229                           // 000000008654: D1FF00E2 0797C550
	v_cndmask_b32_e64 v32, v226, v228, s[74:75]                // 00000000865C: D1000020 012BC9E2
	v_lshrrev_b32_e32 v32, 16, v32                             // 000000008664: 20404090
	v_cmp_u_f32_e64 s[74:75], v81, v81                         // 000000008668: D048004A 0002A351
	v_bfe_u32 v226, v81, 16, 1                                 // 000000008670: D1C800E2 02052151
	v_add3_u32 v226, v81, v226, v229                           // 000000008678: D1FF00E2 0797C551
	v_cndmask_b32_e64 v33, v226, v228, s[74:75]                // 000000008680: D1000021 012BC9E2
	v_and_or_b32 v78, v33, v227, v32                           // 000000008688: D201004E 0483C721
	v_cmp_u_f32_e64 s[74:75], v82, v82                         // 000000008690: D048004A 0002A552
	v_bfe_u32 v226, v82, 16, 1                                 // 000000008698: D1C800E2 02052152
	v_add3_u32 v226, v82, v226, v229                           // 0000000086A0: D1FF00E2 0797C552
	v_cndmask_b32_e64 v32, v226, v228, s[74:75]                // 0000000086A8: D1000020 012BC9E2
	v_lshrrev_b32_e32 v32, 16, v32                             // 0000000086B0: 20404090
	v_cmp_u_f32_e64 s[74:75], v83, v83                         // 0000000086B4: D048004A 0002A753
	v_bfe_u32 v226, v83, 16, 1                                 // 0000000086BC: D1C800E2 02052153
	v_add3_u32 v226, v83, v226, v229                           // 0000000086C4: D1FF00E2 0797C553
	v_cndmask_b32_e64 v33, v226, v228, s[74:75]                // 0000000086CC: D1000021 012BC9E2
	v_and_or_b32 v79, v33, v227, v32                           // 0000000086D4: D201004F 0483C721
	v_cmp_u_f32_e64 s[74:75], v84, v84                         // 0000000086DC: D048004A 0002A954
	v_bfe_u32 v226, v84, 16, 1                                 // 0000000086E4: D1C800E2 02052154
	v_add3_u32 v226, v84, v226, v229                           // 0000000086EC: D1FF00E2 0797C554
	v_cndmask_b32_e64 v32, v226, v228, s[74:75]                // 0000000086F4: D1000020 012BC9E2
	v_lshrrev_b32_e32 v32, 16, v32                             // 0000000086FC: 20404090
	v_cmp_u_f32_e64 s[74:75], v85, v85                         // 000000008700: D048004A 0002AB55
	v_bfe_u32 v226, v85, 16, 1                                 // 000000008708: D1C800E2 02052155
	v_add3_u32 v226, v85, v226, v229                           // 000000008710: D1FF00E2 0797C555
	v_cndmask_b32_e64 v33, v226, v228, s[74:75]                // 000000008718: D1000021 012BC9E2
	v_and_or_b32 v80, v33, v227, v32                           // 000000008720: D2010050 0483C721
	v_cmp_u_f32_e64 s[74:75], v86, v86                         // 000000008728: D048004A 0002AD56
	v_bfe_u32 v226, v86, 16, 1                                 // 000000008730: D1C800E2 02052156
	v_add3_u32 v226, v86, v226, v229                           // 000000008738: D1FF00E2 0797C556
	v_cndmask_b32_e64 v32, v226, v228, s[74:75]                // 000000008740: D1000020 012BC9E2
	v_lshrrev_b32_e32 v32, 16, v32                             // 000000008748: 20404090
	v_cmp_u_f32_e64 s[74:75], v87, v87                         // 00000000874C: D048004A 0002AF57
	v_bfe_u32 v226, v87, 16, 1                                 // 000000008754: D1C800E2 02052157
	v_add3_u32 v226, v87, v226, v229                           // 00000000875C: D1FF00E2 0797C557
	v_cndmask_b32_e64 v33, v226, v228, s[74:75]                // 000000008764: D1000021 012BC9E2
	v_and_or_b32 v81, v33, v227, v32                           // 00000000876C: D2010051 0483C721
	v_mfma_f32_16x16x16_bf16 v[198:201], v[126:127], v[166:167], v[198:201]// 000000008774: D3E100C6 071B4D7E
	v_mov_b32_dpp v22, v76 quad_perm:[1,0,3,2] row_mask:0xf bank_mask:0xf// 00000000877C: 7E2C02FA FF00B14C
	v_perm_b32 v52, v22, v76, v21                              // 000000008784: D1ED0034 04569916
	v_mov_b32_dpp v22, v77 quad_perm:[1,0,3,2] row_mask:0xf bank_mask:0xf// 00000000878C: 7E2C02FA FF00B14D
	v_perm_b32 v53, v22, v77, v21                              // 000000008794: D1ED0035 04569B16
	v_mov_b32_dpp v22, v78 quad_perm:[1,0,3,2] row_mask:0xf bank_mask:0xf// 00000000879C: 7E2C02FA FF00B14E
	v_perm_b32 v54, v22, v78, v21                              // 0000000087A4: D1ED0036 04569D16
	v_mfma_f32_16x16x16_bf16 v[202:205], v[128:129], v[166:167], v[202:205]// 0000000087AC: D3E100CA 072B4D80
	ds_write_b32 v24, v52 offset:17408                         // 0000000087B4: D81A4400 00003418
	ds_write_b32 v24, v53 offset:17952                         // 0000000087BC: D81A4620 00003518
	v_mfma_f32_16x16x16_bf16 v[206:209], v[130:131], v[166:167], v[206:209]// 0000000087C4: D3E100CE 073B4D82
	v_mov_b32_dpp v22, v79 quad_perm:[1,0,3,2] row_mask:0xf bank_mask:0xf// 0000000087CC: 7E2C02FA FF00B14F
	v_perm_b32 v55, v22, v79, v21                              // 0000000087D4: D1ED0037 04569F16
	v_mov_b32_dpp v22, v80 quad_perm:[1,0,3,2] row_mask:0xf bank_mask:0xf// 0000000087DC: 7E2C02FA FF00B150
	v_perm_b32 v56, v22, v80, v21                              // 0000000087E4: D1ED0038 0456A116
	v_mov_b32_dpp v22, v81 quad_perm:[1,0,3,2] row_mask:0xf bank_mask:0xf// 0000000087EC: 7E2C02FA FF00B151
	v_perm_b32 v57, v22, v81, v21                              // 0000000087F4: D1ED0039 0456A316
	v_mfma_f32_16x16x16_bf16 v[210:213], v[124:125], v[168:169], v[210:213]// 0000000087FC: D3E100D2 074B517C
	ds_write_b32 v24, v54 offset:19712                         // 000000008804: D81A4D00 00003618
	ds_write_b32 v24, v55 offset:20256                         // 00000000880C: D81A4F20 00003718
	v_mfma_f32_16x16x16_bf16 v[214:217], v[126:127], v[168:169], v[214:217]// 000000008814: D3E100D6 075B517E
	v_subrev_f32_dpp v88, v177, v88 quad_perm:[0,0,0,0] row_mask:0xf bank_mask:0xf// 00000000881C: 06B0B0FA FF0000B1
	v_subrev_f32_dpp v89, v177, v89 quad_perm:[1,1,1,1] row_mask:0xf bank_mask:0xf// 000000008824: 06B2B2FA FF0055B1
	v_subrev_f32_dpp v90, v177, v90 quad_perm:[2,2,2,2] row_mask:0xf bank_mask:0xf// 00000000882C: 06B4B4FA FF00AAB1
	v_subrev_f32_dpp v91, v177, v91 quad_perm:[3,3,3,3] row_mask:0xf bank_mask:0xf// 000000008834: 06B6B6FA FF00FFB1
	v_subrev_f32_dpp v92, v177, v92 quad_perm:[0,0,0,0] row_mask:0xf bank_mask:0xf// 00000000883C: 06B8B8FA FF0000B1
	v_subrev_f32_dpp v93, v177, v93 quad_perm:[1,1,1,1] row_mask:0xf bank_mask:0xf// 000000008844: 06BABAFA FF0055B1
	v_mfma_f32_16x16x16_bf16 v[218:221], v[128:129], v[168:169], v[218:221]// 00000000884C: D3E100DA 076B5180
	ds_write_b32 v24, v56 offset:22016                         // 000000008854: D81A5600 00003818
	ds_write_b32 v24, v57 offset:22560                         // 00000000885C: D81A5820 00003918
	v_mfma_f32_16x16x16_bf16 v[222:225], v[130:131], v[168:169], v[222:225]// 000000008864: D3E100DE 077B5182
	v_subrev_f32_dpp v94, v177, v94 quad_perm:[2,2,2,2] row_mask:0xf bank_mask:0xf// 00000000886C: 06BCBCFA FF00AAB1
	v_subrev_f32_dpp v95, v177, v95 quad_perm:[3,3,3,3] row_mask:0xf bank_mask:0xf// 000000008874: 06BEBEFA FF00FFB1
	v_subrev_f32_dpp v96, v177, v96 quad_perm:[0,0,0,0] row_mask:0xf bank_mask:0xf// 00000000887C: 06C0C0FA FF0000B1
	v_subrev_f32_dpp v97, v177, v97 quad_perm:[1,1,1,1] row_mask:0xf bank_mask:0xf// 000000008884: 06C2C2FA FF0055B1
	v_subrev_f32_dpp v98, v177, v98 quad_perm:[2,2,2,2] row_mask:0xf bank_mask:0xf// 00000000888C: 06C4C4FA FF00AAB1
	v_subrev_f32_dpp v99, v177, v99 quad_perm:[3,3,3,3] row_mask:0xf bank_mask:0xf// 000000008894: 06C6C6FA FF00FFB1
	v_mfma_f32_16x16x16_bf16 v[178:181], v[132:133], v[170:171], v[178:181]// 00000000889C: D3E100B2 06CB5584
	v_mul_f32_e32 v88, v64, v88                                // 0000000088A4: 0AB0B140
	v_mul_f32_e32 v89, v65, v89                                // 0000000088A8: 0AB2B341
	v_mul_f32_e32 v90, v66, v90                                // 0000000088AC: 0AB4B542
	v_mul_f32_e32 v91, v67, v91                                // 0000000088B0: 0AB6B743
	v_mul_f32_e32 v92, v68, v92                                // 0000000088B4: 0AB8B944
	v_mul_f32_e32 v93, v69, v93                                // 0000000088B8: 0ABABB45
	v_mfma_f32_16x16x16_bf16 v[182:185], v[134:135], v[170:171], v[182:185]// 0000000088BC: D3E100B6 06DB5586
	v_mul_f32_e32 v94, v70, v94                                // 0000000088C4: 0ABCBD46
	v_mul_f32_e32 v95, v71, v95                                // 0000000088C8: 0ABEBF47
	v_mul_f32_e32 v96, v72, v96                                // 0000000088CC: 0AC0C148
	v_mul_f32_e32 v97, v73, v97                                // 0000000088D0: 0AC2C349
	v_mul_f32_e32 v98, v74, v98                                // 0000000088D4: 0AC4C54A
	v_mul_f32_e32 v99, v75, v99                                // 0000000088D8: 0AC6C74B
	v_mfma_f32_16x16x16_bf16 v[186:189], v[136:137], v[170:171], v[186:189]// 0000000088DC: D3E100BA 06EB5588
	v_cmp_u_f32_e64 s[74:75], v88, v88                         // 0000000088E4: D048004A 0002B158
	v_bfe_u32 v226, v88, 16, 1                                 // 0000000088EC: D1C800E2 02052158
	v_add3_u32 v226, v88, v226, v229                           // 0000000088F4: D1FF00E2 0797C558
	v_cndmask_b32_e64 v32, v226, v228, s[74:75]                // 0000000088FC: D1000020 012BC9E2
	v_lshrrev_b32_e32 v32, 16, v32                             // 000000008904: 20404090
	v_cmp_u_f32_e64 s[74:75], v89, v89                         // 000000008908: D048004A 0002B359
	v_bfe_u32 v226, v89, 16, 1                                 // 000000008910: D1C800E2 02052159
	v_add3_u32 v226, v89, v226, v229                           // 000000008918: D1FF00E2 0797C559
	v_cndmask_b32_e64 v33, v226, v228, s[74:75]                // 000000008920: D1000021 012BC9E2
	v_and_or_b32 v82, v33, v227, v32                           // 000000008928: D2010052 0483C721
	v_cmp_u_f32_e64 s[74:75], v90, v90                         // 000000008930: D048004A 0002B55A
	v_bfe_u32 v226, v90, 16, 1                                 // 000000008938: D1C800E2 0205215A
	v_add3_u32 v226, v90, v226, v229                           // 000000008940: D1FF00E2 0797C55A
	v_cndmask_b32_e64 v32, v226, v228, s[74:75]                // 000000008948: D1000020 012BC9E2
	v_lshrrev_b32_e32 v32, 16, v32                             // 000000008950: 20404090
	v_cmp_u_f32_e64 s[74:75], v91, v91                         // 000000008954: D048004A 0002B75B
	v_bfe_u32 v226, v91, 16, 1                                 // 00000000895C: D1C800E2 0205215B
	v_add3_u32 v226, v91, v226, v229                           // 000000008964: D1FF00E2 0797C55B
	v_cndmask_b32_e64 v33, v226, v228, s[74:75]                // 00000000896C: D1000021 012BC9E2
	v_and_or_b32 v83, v33, v227, v32                           // 000000008974: D2010053 0483C721
	v_cmp_u_f32_e64 s[74:75], v92, v92                         // 00000000897C: D048004A 0002B95C
	v_bfe_u32 v226, v92, 16, 1                                 // 000000008984: D1C800E2 0205215C
	v_add3_u32 v226, v92, v226, v229                           // 00000000898C: D1FF00E2 0797C55C
	v_cndmask_b32_e64 v32, v226, v228, s[74:75]                // 000000008994: D1000020 012BC9E2
	v_lshrrev_b32_e32 v32, 16, v32                             // 00000000899C: 20404090
	v_cmp_u_f32_e64 s[74:75], v93, v93                         // 0000000089A0: D048004A 0002BB5D
	v_bfe_u32 v226, v93, 16, 1                                 // 0000000089A8: D1C800E2 0205215D
	v_add3_u32 v226, v93, v226, v229                           // 0000000089B0: D1FF00E2 0797C55D
	v_cndmask_b32_e64 v33, v226, v228, s[74:75]                // 0000000089B8: D1000021 012BC9E2
	v_and_or_b32 v84, v33, v227, v32                           // 0000000089C0: D2010054 0483C721
	v_cmp_u_f32_e64 s[74:75], v94, v94                         // 0000000089C8: D048004A 0002BD5E
	v_bfe_u32 v226, v94, 16, 1                                 // 0000000089D0: D1C800E2 0205215E
	v_add3_u32 v226, v94, v226, v229                           // 0000000089D8: D1FF00E2 0797C55E
	v_cndmask_b32_e64 v32, v226, v228, s[74:75]                // 0000000089E0: D1000020 012BC9E2
	v_lshrrev_b32_e32 v32, 16, v32                             // 0000000089E8: 20404090
	v_cmp_u_f32_e64 s[74:75], v95, v95                         // 0000000089EC: D048004A 0002BF5F
	v_bfe_u32 v226, v95, 16, 1                                 // 0000000089F4: D1C800E2 0205215F
	v_add3_u32 v226, v95, v226, v229                           // 0000000089FC: D1FF00E2 0797C55F
	v_cndmask_b32_e64 v33, v226, v228, s[74:75]                // 000000008A04: D1000021 012BC9E2
	v_and_or_b32 v85, v33, v227, v32                           // 000000008A0C: D2010055 0483C721
	v_cmp_u_f32_e64 s[74:75], v96, v96                         // 000000008A14: D048004A 0002C160
	v_bfe_u32 v226, v96, 16, 1                                 // 000000008A1C: D1C800E2 02052160
	v_add3_u32 v226, v96, v226, v229                           // 000000008A24: D1FF00E2 0797C560
	v_cndmask_b32_e64 v32, v226, v228, s[74:75]                // 000000008A2C: D1000020 012BC9E2
	v_lshrrev_b32_e32 v32, 16, v32                             // 000000008A34: 20404090
	v_cmp_u_f32_e64 s[74:75], v97, v97                         // 000000008A38: D048004A 0002C361
	v_bfe_u32 v226, v97, 16, 1                                 // 000000008A40: D1C800E2 02052161
	v_add3_u32 v226, v97, v226, v229                           // 000000008A48: D1FF00E2 0797C561
	v_cndmask_b32_e64 v33, v226, v228, s[74:75]                // 000000008A50: D1000021 012BC9E2
	v_and_or_b32 v86, v33, v227, v32                           // 000000008A58: D2010056 0483C721
	v_cmp_u_f32_e64 s[74:75], v98, v98                         // 000000008A60: D048004A 0002C562
	v_bfe_u32 v226, v98, 16, 1                                 // 000000008A68: D1C800E2 02052162
	v_add3_u32 v226, v98, v226, v229                           // 000000008A70: D1FF00E2 0797C562
	v_cndmask_b32_e64 v32, v226, v228, s[74:75]                // 000000008A78: D1000020 012BC9E2
	v_lshrrev_b32_e32 v32, 16, v32                             // 000000008A80: 20404090
	v_cmp_u_f32_e64 s[74:75], v99, v99                         // 000000008A84: D048004A 0002C763
	v_bfe_u32 v226, v99, 16, 1                                 // 000000008A8C: D1C800E2 02052163
	v_add3_u32 v226, v99, v226, v229                           // 000000008A94: D1FF00E2 0797C563
	v_cndmask_b32_e64 v33, v226, v228, s[74:75]                // 000000008A9C: D1000021 012BC9E2
	v_and_or_b32 v87, v33, v227, v32                           // 000000008AA4: D2010057 0483C721
	v_mfma_f32_16x16x16_bf16 v[190:193], v[138:139], v[170:171], v[190:193]// 000000008AAC: D3E100BE 06FB558A
	v_mov_b32_dpp v22, v82 quad_perm:[1,0,3,2] row_mask:0xf bank_mask:0xf// 000000008AB4: 7E2C02FA FF00B152
	v_perm_b32 v58, v22, v82, v21                              // 000000008ABC: D1ED003A 0456A516
	v_mov_b32_dpp v22, v83 quad_perm:[1,0,3,2] row_mask:0xf bank_mask:0xf// 000000008AC4: 7E2C02FA FF00B153
	v_perm_b32 v59, v22, v83, v21                              // 000000008ACC: D1ED003B 0456A716
	v_mov_b32_dpp v22, v84 quad_perm:[1,0,3,2] row_mask:0xf bank_mask:0xf// 000000008AD4: 7E2C02FA FF00B154
	v_perm_b32 v60, v22, v84, v21                              // 000000008ADC: D1ED003C 0456A916
	v_mfma_f32_16x16x16_bf16 v[194:197], v[132:133], v[172:173], v[194:197]// 000000008AE4: D3E100C2 070B5984
	ds_write_b32 v24, v58 offset:24320                         // 000000008AEC: D81A5F00 00003A18
	ds_write_b32 v24, v59 offset:24864                         // 000000008AF4: D81A6120 00003B18
	v_mfma_f32_16x16x16_bf16 v[198:201], v[134:135], v[172:173], v[198:201]// 000000008AFC: D3E100C6 071B5986
	v_mov_b32_dpp v22, v85 quad_perm:[1,0,3,2] row_mask:0xf bank_mask:0xf// 000000008B04: 7E2C02FA FF00B155
	v_perm_b32 v61, v22, v85, v21                              // 000000008B0C: D1ED003D 0456AB16
	v_mov_b32_dpp v22, v86 quad_perm:[1,0,3,2] row_mask:0xf bank_mask:0xf// 000000008B14: 7E2C02FA FF00B156
	v_perm_b32 v62, v22, v86, v21                              // 000000008B1C: D1ED003E 0456AD16
	v_mov_b32_dpp v22, v87 quad_perm:[1,0,3,2] row_mask:0xf bank_mask:0xf// 000000008B24: 7E2C02FA FF00B157
	v_perm_b32 v63, v22, v87, v21                              // 000000008B2C: D1ED003F 0456AF16
	v_mfma_f32_16x16x16_bf16 v[202:205], v[136:137], v[172:173], v[202:205]// 000000008B34: D3E100CA 072B5988
	ds_write_b32 v24, v60 offset:26624                         // 000000008B3C: D81A6800 00003C18
	ds_write_b32 v24, v61 offset:27168                         // 000000008B44: D81A6A20 00003D18
	ds_write_b32 v24, v62 offset:28928                         // 000000008B4C: D81A7100 00003E18
	ds_write_b32 v24, v63 offset:29472                         // 000000008B54: D81A7320 00003F18
	v_mfma_f32_16x16x16_bf16 v[206:209], v[138:139], v[172:173], v[206:209]// 000000008B5C: D3E100CE 073B598A
	v_mfma_f32_16x16x16_bf16 v[210:213], v[132:133], v[174:175], v[210:213]// 000000008B64: D3E100D2 074B5D84
	ds_write_b32 v19, v100 offset:4352                         // 000000008B6C: D81A1100 00006413
	ds_write_b32 v19, v101 offset:5408                         // 000000008B74: D81A1520 00006513
	v_mfma_f32_16x16x16_bf16 v[214:217], v[134:135], v[174:175], v[214:217]// 000000008B7C: D3E100D6 075B5D86
	v_mfma_f32_16x16x16_bf16 v[218:221], v[136:137], v[174:175], v[218:221]// 000000008B84: D3E100DA 076B5D88
	ds_write_b32 v19, v102 offset:6528                         // 000000008B8C: D81A1980 00006613
	ds_write_b32 v19, v103 offset:7584                         // 000000008B94: D81A1DA0 00006713
	v_mfma_f32_16x16x16_bf16 v[222:225], v[138:139], v[174:175], v[222:225]// 000000008B9C: D3E100DE 077B5D8A
	s_nop 0                                                    // 000000008BA4: BF800000
	s_nop 0                                                    // 000000008BA8: BF800000
	s_nop 0                                                    // 000000008BAC: BF800000
	s_barrier                                                  // 000000008BB0: BF8A0000
	v_mfma_f32_16x16x16_bf16 a[112:115], a[96:97], v[76:77], a[112:115]// 000000008BB4: D3E18070 0DC29960
	ds_read_b32 v140, v27 offset:36096                         // 000000008BBC: D86C8D00 8C00001B
	ds_read_b32 v144, v27 offset:36160                         // 000000008BC4: D86C8D40 9000001B
	ds_read_b32 v176, v27 offset:36352                         // 000000008BCC: D86C8E00 B000001B
	ds_read_b32 v177, v27 offset:36416                         // 000000008BD4: D86C8E40 B100001B
	v_mfma_f32_16x16x16_bf16 a[116:119], a[98:99], v[76:77], a[116:119]// 000000008BDC: D3E18074 0DD29962
	global_atomic_pk_add_bf16 v6, v156, s[32:33]               // 000000008BE4: DD488000 00209C06
	v_mfma_f32_16x16x16_bf16 a[120:123], a[100:101], v[76:77], a[120:123]// 000000008BEC: D3E18078 0DE29964
	s_waitcnt lgkmcnt(8)                                       // 000000008BF4: BF8CC87F
	s_barrier                                                  // 000000008BF8: BF8A0000
	v_mfma_f32_16x16x16_bf16 a[124:127], a[102:103], v[76:77], a[124:127]// 000000008BFC: D3E1807C 0DF29966
	v_mfma_f32_16x16x16_bf16 a[128:131], a[96:97], v[78:79], a[128:131]// 000000008C04: D3E18080 0E029D60
	ds_read_b128 v[52:55], v23 offset:17408                    // 000000008C0C: D9FE4400 34000017
	v_mfma_f32_16x16x16_bf16 a[132:135], a[98:99], v[78:79], a[132:135]// 000000008C14: D3E18084 0E129D62
	v_mfma_f32_16x16x16_bf16 a[136:139], a[100:101], v[78:79], a[136:139]// 000000008C1C: D3E18088 0E229D64
	ds_read_b128 v[56:59], v23 offset:18560                    // 000000008C24: D9FE4880 38000017
	v_mfma_f32_16x16x16_bf16 a[140:143], a[102:103], v[78:79], a[140:143]// 000000008C2C: D3E1808C 0E329D66
	global_atomic_pk_add_bf16 v8, v157, s[32:33]               // 000000008C34: DD488000 00209D08
	v_mfma_f32_16x16x16_bf16 a[144:147], a[96:97], v[80:81], a[144:147]// 000000008C3C: D3E18090 0E42A160
	ds_read_b128 v[60:63], v23 offset:19712                    // 000000008C44: D9FE4D00 3C000017
	v_mfma_f32_16x16x16_bf16 a[148:151], a[98:99], v[80:81], a[148:151]// 000000008C4C: D3E18094 0E52A162
	v_mfma_f32_16x16x16_bf16 a[152:155], a[100:101], v[80:81], a[152:155]// 000000008C54: D3E18098 0E62A164
	ds_read_b128 v[64:67], v23 offset:20864                    // 000000008C5C: D9FE5180 40000017
	v_mfma_f32_16x16x16_bf16 a[156:159], a[102:103], v[80:81], a[156:159]// 000000008C64: D3E1809C 0E72A166
	v_mfma_f32_16x16x16_bf16 a[112:115], a[104:105], v[82:83], a[112:115]// 000000008C6C: D3E18070 0DC2A568
	ds_read_b128 v[68:71], v23 offset:22016                    // 000000008C74: D9FE5600 44000017
	v_mfma_f32_16x16x16_bf16 a[116:119], a[106:107], v[82:83], a[116:119]// 000000008C7C: D3E18074 0DD2A56A
	global_atomic_pk_add_bf16 v10, v158, s[32:33]              // 000000008C84: DD488000 00209E0A
	v_mfma_f32_16x16x16_bf16 a[120:123], a[108:109], v[82:83], a[120:123]// 000000008C8C: D3E18078 0DE2A56C
	ds_read_b128 v[72:75], v23 offset:23168                    // 000000008C94: D9FE5A80 48000017
	v_mfma_f32_16x16x16_bf16 a[124:127], a[110:111], v[82:83], a[124:127]// 000000008C9C: D3E1807C 0DF2A56E
	v_mfma_f32_16x16x16_bf16 a[128:131], a[104:105], v[84:85], a[128:131]// 000000008CA4: D3E18080 0E02A968
	ds_write_b32 v19, v104 offset:13056                        // 000000008CAC: D81A3300 00006813
	v_mfma_f32_16x16x16_bf16 a[132:135], a[106:107], v[84:85], a[132:135]// 000000008CB4: D3E18084 0E12A96A
	v_mfma_f32_16x16x16_bf16 a[136:139], a[108:109], v[84:85], a[136:139]// 000000008CBC: D3E18088 0E22A96C
	ds_write_b32 v19, v105 offset:14112                        // 000000008CC4: D81A3720 00006913
	v_mfma_f32_16x16x16_bf16 a[140:143], a[110:111], v[84:85], a[140:143]// 000000008CCC: D3E1808C 0E32A96E
	global_atomic_pk_add_bf16 v12, v159, s[32:33]              // 000000008CD4: DD488000 00209F0C
	v_mfma_f32_16x16x16_bf16 a[144:147], a[104:105], v[86:87], a[144:147]// 000000008CDC: D3E18090 0E42AD68
	ds_write_b32 v19, v106 offset:15232                        // 000000008CE4: D81A3B80 00006A13
	v_mfma_f32_16x16x16_bf16 a[148:151], a[106:107], v[86:87], a[148:151]// 000000008CEC: D3E18094 0E52AD6A
	v_mfma_f32_16x16x16_bf16 a[152:155], a[108:109], v[86:87], a[152:155]// 000000008CF4: D3E18098 0E62AD6C
	ds_write_b32 v19, v107 offset:16288                        // 000000008CFC: D81A3FA0 00006B13
	v_mfma_f32_16x16x16_bf16 a[156:159], a[110:111], v[86:87], a[156:159]// 000000008D04: D3E1809C 0E72AD6E
	s_waitcnt vmcnt(4) lgkmcnt(4)                              // 000000008D0C: BF8C0474
	s_barrier                                                  // 000000008D10: BF8A0000
	v_mfma_f32_16x16x16_bf16 v[148:151], a[24:25], v[52:53], 0 // 000000008D14: D3E10094 0A026918
	ds_read_b128 a[96:99], v16                                 // 000000008D1C: DBFE0000 60000010
	buffer_load_dword v40, v1, s[8:11], 0 idxen                // 000000008D24: E0502000 80022801
	v_mfma_f32_16x16x16_bf16 v[148:151], a[28:29], v[54:55], v[148:151]// 000000008D2C: D3E10094 0E526D1C
	v_mul_f32_e32 v140, s49, v140                              // 000000008D34: 0B191831
	v_mul_f32_e32 v144, s49, v144                              // 000000008D38: 0B212031
	s_nop 0                                                    // 000000008D3C: BF800000
	v_mfma_f32_16x16x16_bf16 v[148:151], a[32:33], v[56:57], v[148:151]// 000000008D40: D3E10094 0E527120
	ds_read_b128 a[100:103], v16 offset:512                    // 000000008D48: DBFE0200 64000010
	buffer_load_dword v41, v2, s[8:11], 0 idxen                // 000000008D50: E0502000 80022902
	v_mfma_f32_16x16x16_bf16 v[148:151], a[36:37], v[58:59], v[148:151]// 000000008D58: D3E10094 0E527524
	v_mfma_f32_16x16x16_bf16 v[148:151], a[40:41], v[60:61], v[148:151]// 000000008D60: D3E10094 0E527928
	ds_read_b128 a[104:107], v16 offset:2176                   // 000000008D68: DBFE0880 68000010
	buffer_load_dword v42, v3, s[8:11], 0 idxen                // 000000008D70: E0502000 80022A03
	v_mfma_f32_16x16x16_bf16 v[148:151], a[44:45], v[62:63], v[148:151]// 000000008D78: D3E10094 0E527D2C
	v_perm_b32 v100, v37, v36, s63                             // 000000008D80: D1ED0064 00FE4925
	v_perm_b32 v101, v37, v36, s64                             // 000000008D88: D1ED0065 01024925
	v_mfma_f32_16x16x16_bf16 v[148:151], a[48:49], v[64:65], v[148:151]// 000000008D90: D3E10094 0E528130
	ds_read_b128 a[108:111], v16 offset:2688                   // 000000008D98: DBFE0A80 6C000010
	buffer_load_dword v43, v4, s[8:11], 0 idxen                // 000000008DA0: E0502000 80022B04
	v_mfma_f32_16x16x16_bf16 v[148:151], a[52:53], v[66:67], v[148:151]// 000000008DA8: D3E10094 0E528534
	v_perm_b32 v102, v39, v38, s63                             // 000000008DB0: D1ED0066 00FE4D27
	v_perm_b32 v103, v39, v38, s64                             // 000000008DB8: D1ED0067 01024D27
	v_mfma_f32_16x16x16_bf16 v[148:151], a[56:57], v[68:69], v[148:151]// 000000008DC0: D3E10094 0E528938
	ds_read_b128 v[108:111], v16 offset:8704                   // 000000008DC8: D9FE2200 6C000010
	buffer_load_dword v48, v1, s[20:23], 0 idxen               // 000000008DD0: E0502000 80053001
	v_mfma_f32_16x16x16_bf16 v[148:151], a[60:61], v[70:71], v[148:151]// 000000008DD8: D3E10094 0E528D3C
	v_perm_b32 v104, v45, v44, s63                             // 000000008DE0: D1ED0068 00FE592D
	v_perm_b32 v105, v45, v44, s64                             // 000000008DE8: D1ED0069 0102592D
	v_mfma_f32_16x16x16_bf16 v[148:151], a[64:65], v[72:73], v[148:151]// 000000008DF0: D3E10094 0E529140
	ds_read_b128 v[112:115], v16 offset:9216                   // 000000008DF8: D9FE2400 70000010
	buffer_load_dword v49, v2, s[20:23], 0 idxen               // 000000008E00: E0502000 80053102
	v_mfma_f32_16x16x16_bf16 v[148:151], a[68:69], v[74:75], v[148:151]// 000000008E08: D3E10094 0E529544
	v_perm_b32 v106, v47, v46, s63                             // 000000008E10: D1ED006A 00FE5D2F
	v_perm_b32 v107, v47, v46, s64                             // 000000008E18: D1ED006B 01025D2F
	v_mfma_f32_16x16x16_bf16 v[152:155], a[26:27], v[52:53], 0 // 000000008E20: D3E10098 0A02691A
	ds_read_b128 v[116:119], v16 offset:10880                  // 000000008E28: D9FE2A80 74000010
	buffer_load_dword v50, v3, s[20:23], 0 idxen               // 000000008E30: E0502000 80053203
	v_mfma_f32_16x16x16_bf16 v[152:155], a[30:31], v[54:55], v[152:155]// 000000008E38: D3E10098 0E626D1E
	v_mov_b32_dpp v143, v140 quad_perm:[3,3,3,3] row_mask:0xf bank_mask:0xf// 000000008E40: 7F1E02FA FF00FF8C
	v_mov_b32_dpp v142, v140 quad_perm:[2,2,2,2] row_mask:0xf bank_mask:0xf// 000000008E48: 7F1C02FA FF00AA8C
	v_mov_b32_dpp v141, v140 quad_perm:[1,1,1,1] row_mask:0xf bank_mask:0xf// 000000008E50: 7F1A02FA FF00558C
	v_mov_b32_dpp v140, v140 quad_perm:[0,0,0,0] row_mask:0xf bank_mask:0xf// 000000008E58: 7F1802FA FF00008C
	v_mfma_f32_16x16x16_bf16 v[152:155], a[34:35], v[56:57], v[152:155]// 000000008E60: D3E10098 0E627122
	ds_read_b128 v[120:123], v16 offset:11392                  // 000000008E68: D9FE2C80 78000010
	buffer_load_dword v51, v4, s[20:23], 0 idxen               // 000000008E70: E0502000 80053304
	v_mfma_f32_16x16x16_bf16 v[152:155], a[38:39], v[58:59], v[152:155]// 000000008E78: D3E10098 0E627526
	v_mov_b32_dpp v147, v144 quad_perm:[3,3,3,3] row_mask:0xf bank_mask:0xf// 000000008E80: 7F2602FA FF00FF90
	v_mov_b32_dpp v146, v144 quad_perm:[2,2,2,2] row_mask:0xf bank_mask:0xf// 000000008E88: 7F2402FA FF00AA90
	v_mov_b32_dpp v145, v144 quad_perm:[1,1,1,1] row_mask:0xf bank_mask:0xf// 000000008E90: 7F2202FA FF005590
	v_mov_b32_dpp v144, v144 quad_perm:[0,0,0,0] row_mask:0xf bank_mask:0xf// 000000008E98: 7F2002FA FF000090
	s_add_u32 s60, 0x80, s59                                   // 000000008EA0: 803C3BFF 00000080
	v_mfma_f32_16x16x16_bf16 v[152:155], a[42:43], v[60:61], v[152:155]// 000000008EA8: D3E10098 0E62792A
	buffer_load_dword v15, s[24:27], 0 idxen lds               // 000000008EB0: E0512000 8006000F
	v_mfma_f32_16x16x16_bf16 v[152:155], a[46:47], v[62:63], v[152:155]// 000000008EB8: D3E10098 0E627D2E
	s_cmp_lt_u32 s60, s58                                      // 000000008EC0: BF0A3A3C
	s_cselect_b32 s68, s68, 0                                  // 000000008EC4: 85448044
	s_cselect_b32 s69, s69, 0                                  // 000000008EC8: 85458045
	v_mfma_f32_16x16x16_bf16 v[152:155], a[50:51], v[64:65], v[152:155]// 000000008ECC: D3E10098 0E628132
	s_add_u32 s8, s68, s8                                      // 000000008ED4: 80080844
	s_addc_u32 s9, 0, s9                                       // 000000008ED8: 82090980
	v_mfma_f32_16x16x16_bf16 v[152:155], a[54:55], v[66:67], v[152:155]// 000000008EDC: D3E10098 0E628536
	s_add_u32 s20, s68, s20                                    // 000000008EE4: 80141444
	s_addc_u32 s21, 0, s21                                     // 000000008EE8: 82151580
	v_mfma_f32_16x16x16_bf16 v[152:155], a[58:59], v[68:69], v[152:155]// 000000008EEC: D3E10098 0E62893A
	s_mov_b32 m0, s76                                          // 000000008EF4: BEFC004C
	v_add_u32_e32 v15, s69, v15                                // 000000008EF8: 681E1E45
	v_mfma_f32_16x16x16_bf16 v[152:155], a[62:63], v[70:71], v[152:155]// 000000008EFC: D3E10098 0E628D3E
	s_cmp_ge_u32 s59, 32                                       // 000000008F04: BF09A03B
	s_cselect_b32 s66, s67, s66                                // 000000008F08: 85424243
	v_mfma_f32_16x16x16_bf16 v[152:155], a[66:67], v[72:73], v[152:155]// 000000008F0C: D3E10098 0E629142
	s_addk_i32 s59, 0x20                                       // 000000008F14: B73B0020
	s_nop 0                                                    // 000000008F18: BF800000
	s_cmp_lt_i32 s59, s58                                      // 000000008F1C: BF043A3B
	v_mfma_f32_16x16x16_bf16 v[152:155], a[70:71], v[74:75], v[152:155]// 000000008F20: D3E10098 0E629546
	s_cbranch_scc0 label_0F0D                                  // 000000008F28: BF84FB42
	s_waitcnt lgkmcnt(4)                                       // 000000008F2C: BF8CC47F
	s_barrier                                                  // 000000008F30: BF8A0000
	v_mfma_f32_16x16x16_bf16 v[52:55], a[96:97], a[0:1], 0     // 000000008F34: D3E10034 1A020160
	v_mul_f32_e32 v148, s48, v148                              // 000000008F3C: 0B292830
	v_mul_f32_e32 v149, s48, v149                              // 000000008F40: 0B2B2A30
	v_mfma_f32_16x16x16_bf16 v[52:55], a[98:99], a[2:3], v[52:55]// 000000008F44: D3E10034 1CD20562
	ds_write_b32 v17, v44 offset:8704                          // 000000008F4C: D81A2200 00002C11
	ds_write_b32 v17, v45 offset:9760                          // 000000008F54: D81A2620 00002D11
	v_mfma_f32_16x16x16_bf16 v[52:55], a[100:101], a[4:5], v[52:55]// 000000008F5C: D3E10034 1CD20964
	v_mul_f32_e32 v150, s48, v150                              // 000000008F64: 0B2D2C30
	v_mul_f32_e32 v151, s48, v151                              // 000000008F68: 0B2F2E30
	v_mfma_f32_16x16x16_bf16 v[52:55], a[102:103], a[6:7], v[52:55]// 000000008F6C: D3E10034 1CD20D66
	ds_write_b32 v17, v46 offset:10880                         // 000000008F74: D81A2A80 00002E11
	ds_write_b32 v17, v47 offset:11936                         // 000000008F7C: D81A2EA0 00002F11
	v_mfma_f32_16x16x16_bf16 v[56:59], a[96:97], a[8:9], 0     // 000000008F84: D3E10038 1A021160
	v_mul_f32_e32 v152, s48, v152                              // 000000008F8C: 0B313030
	v_mul_f32_e32 v153, s48, v153                              // 000000008F90: 0B333230
	v_mfma_f32_16x16x16_bf16 v[56:59], a[98:99], a[10:11], v[56:59]// 000000008F94: D3E10038 1CE21562
	v_mul_f32_e32 v154, s48, v154                              // 000000008F9C: 0B353430
	v_mul_f32_e32 v155, s48, v155                              // 000000008FA0: 0B373630
	v_mfma_f32_16x16x16_bf16 v[56:59], a[100:101], a[12:13], v[56:59]// 000000008FA4: D3E10038 1CE21964
	v_cmp_u_f32_e64 s[74:75], v148, v148                       // 000000008FAC: D048004A 00032994
	v_bfe_u32 v226, v148, 16, 1                                // 000000008FB4: D1C800E2 02052194
	v_add3_u32 v226, v148, v226, v229                          // 000000008FBC: D1FF00E2 0797C594
	v_cndmask_b32_e64 v32, v226, v228, s[74:75]                // 000000008FC4: D1000020 012BC9E2
	v_lshrrev_b32_e32 v32, 16, v32                             // 000000008FCC: 20404090
	v_cmp_u_f32_e64 s[74:75], v149, v149                       // 000000008FD0: D048004A 00032B95
	v_bfe_u32 v226, v149, 16, 1                                // 000000008FD8: D1C800E2 02052195
	v_add3_u32 v226, v149, v226, v229                          // 000000008FE0: D1FF00E2 0797C595
	v_cndmask_b32_e64 v33, v226, v228, s[74:75]                // 000000008FE8: D1000021 012BC9E2
	v_and_or_b32 v148, v33, v227, v32                          // 000000008FF0: D2010094 0483C721
	v_cmp_u_f32_e64 s[74:75], v150, v150                       // 000000008FF8: D048004A 00032D96
	v_bfe_u32 v226, v150, 16, 1                                // 000000009000: D1C800E2 02052196
	v_add3_u32 v226, v150, v226, v229                          // 000000009008: D1FF00E2 0797C596
	v_cndmask_b32_e64 v32, v226, v228, s[74:75]                // 000000009010: D1000020 012BC9E2
	v_lshrrev_b32_e32 v32, 16, v32                             // 000000009018: 20404090
	v_cmp_u_f32_e64 s[74:75], v151, v151                       // 00000000901C: D048004A 00032F97
	v_bfe_u32 v226, v151, 16, 1                                // 000000009024: D1C800E2 02052197
	v_add3_u32 v226, v151, v226, v229                          // 00000000902C: D1FF00E2 0797C597
	v_cndmask_b32_e64 v33, v226, v228, s[74:75]                // 000000009034: D1000021 012BC9E2
	v_and_or_b32 v149, v33, v227, v32                          // 00000000903C: D2010095 0483C721
	v_mfma_f32_16x16x16_bf16 v[56:59], a[102:103], a[14:15], v[56:59]// 000000009044: D3E10038 1CE21D66
	v_cmp_u_f32_e64 s[74:75], v152, v152                       // 00000000904C: D048004A 00033198
	v_bfe_u32 v226, v152, 16, 1                                // 000000009054: D1C800E2 02052198
	v_add3_u32 v226, v152, v226, v229                          // 00000000905C: D1FF00E2 0797C598
	v_cndmask_b32_e64 v32, v226, v228, s[74:75]                // 000000009064: D1000020 012BC9E2
	v_lshrrev_b32_e32 v32, 16, v32                             // 00000000906C: 20404090
	v_cmp_u_f32_e64 s[74:75], v153, v153                       // 000000009070: D048004A 00033399
	v_bfe_u32 v226, v153, 16, 1                                // 000000009078: D1C800E2 02052199
	v_add3_u32 v226, v153, v226, v229                          // 000000009080: D1FF00E2 0797C599
	v_cndmask_b32_e64 v33, v226, v228, s[74:75]                // 000000009088: D1000021 012BC9E2
	v_and_or_b32 v150, v33, v227, v32                          // 000000009090: D2010096 0483C721
	v_cmp_u_f32_e64 s[74:75], v154, v154                       // 000000009098: D048004A 0003359A
	v_bfe_u32 v226, v154, 16, 1                                // 0000000090A0: D1C800E2 0205219A
	v_add3_u32 v226, v154, v226, v229                          // 0000000090A8: D1FF00E2 0797C59A
	v_cndmask_b32_e64 v32, v226, v228, s[74:75]                // 0000000090B0: D1000020 012BC9E2
	v_lshrrev_b32_e32 v32, 16, v32                             // 0000000090B8: 20404090
	v_cmp_u_f32_e64 s[74:75], v155, v155                       // 0000000090BC: D048004A 0003379B
	v_bfe_u32 v226, v155, 16, 1                                // 0000000090C4: D1C800E2 0205219B
	v_add3_u32 v226, v155, v226, v229                          // 0000000090CC: D1FF00E2 0797C59B
	v_cndmask_b32_e64 v33, v226, v228, s[74:75]                // 0000000090D4: D1000021 012BC9E2
	v_and_or_b32 v151, v33, v227, v32                          // 0000000090DC: D2010097 0483C721
	v_mfma_f32_16x16x16_bf16 v[60:63], a[96:97], a[16:17], 0   // 0000000090E4: D3E1003C 1A022160
	v_mfma_f32_16x16x16_bf16 v[60:63], a[98:99], a[18:19], v[60:63]// 0000000090EC: D3E1003C 1CF22562
	ds_write_b64 v26, v[148:149] offset:31232                  // 0000000090F4: D89A7A00 0000941A
	v_mfma_f32_16x16x16_bf16 v[60:63], a[100:101], a[20:21], v[60:63]// 0000000090FC: D3E1003C 1CF22964
	v_mfma_f32_16x16x16_bf16 v[60:63], a[102:103], a[22:23], v[60:63]// 000000009104: D3E1003C 1CF22D66
	ds_write_b64 v26, v[150:151] offset:31776                  // 00000000910C: D89A7C20 0000961A
	v_mfma_f32_16x16x16_bf16 v[64:67], a[104:105], a[0:1], 0   // 000000009114: D3E10040 1A020168
	v_mfma_f32_16x16x16_bf16 v[64:67], a[106:107], a[2:3], v[64:67]// 00000000911C: D3E10040 1D02056A
	ds_read_b128 v[124:127], v18 offset:13056                  // 000000009124: D9FE3300 7C000012
	ds_write_b32 v17, v36                                      // 00000000912C: D81A0000 00002411
	v_mfma_f32_16x16x16_bf16 v[64:67], a[108:109], a[4:5], v[64:67]// 000000009134: D3E10040 1D02096C
	v_mfma_f32_16x16x16_bf16 v[64:67], a[110:111], a[6:7], v[64:67]// 00000000913C: D3E10040 1D020D6E
	v_mfma_f32_16x16x16_bf16 v[68:71], a[104:105], a[8:9], 0   // 000000009144: D3E10044 1A021168
	ds_read_b128 v[128:131], v18 offset:13568                  // 00000000914C: D9FE3500 80000012
	ds_write_b32 v17, v37 offset:1056                          // 000000009154: D81A0420 00002511
	v_mfma_f32_16x16x16_bf16 v[68:71], a[106:107], a[10:11], v[68:71]// 00000000915C: D3E10044 1D12156A
	v_mfma_f32_16x16x16_bf16 v[68:71], a[108:109], a[12:13], v[68:71]// 000000009164: D3E10044 1D12196C
	v_mfma_f32_16x16x16_bf16 v[68:71], a[110:111], a[14:15], v[68:71]// 00000000916C: D3E10044 1D121D6E
	ds_read_b128 v[132:135], v18 offset:15232                  // 000000009174: D9FE3B80 84000012
	ds_write_b32 v17, v38 offset:2176                          // 00000000917C: D81A0880 00002611
	v_mfma_f32_16x16x16_bf16 v[72:75], a[104:105], a[16:17], 0 // 000000009184: D3E10048 1A022168
	v_mfma_f32_16x16x16_bf16 v[72:75], a[106:107], a[18:19], v[72:75]// 00000000918C: D3E10048 1D22256A
	v_mfma_f32_16x16x16_bf16 v[72:75], a[108:109], a[20:21], v[72:75]// 000000009194: D3E10048 1D22296C
	ds_read_b128 v[136:139], v18 offset:15744                  // 00000000919C: D9FE3D80 88000012
	ds_write_b32 v17, v39 offset:3232                          // 0000000091A4: D81A0CA0 00002711
	v_mfma_f32_16x16x16_bf16 v[72:75], a[110:111], a[22:23], v[72:75]// 0000000091AC: D3E10048 1D222D6E
	s_cmp_lt_i32 s73, 3                                        // 0000000091B4: BF048349
	s_cbranch_scc0 label_1486                                  // 0000000091B8: BF840017
	s_cmp_eq_i32 s73, 1                                        // 0000000091BC: BF008149
	s_cbranch_scc1 label_1474                                  // 0000000091C0: BF850003
	s_cmp_eq_i32 s73, 2                                        // 0000000091C4: BF008249
	s_cbranch_scc1 label_147D                                  // 0000000091C8: BF85000A
	s_branch label_1486                                        // 0000000091CC: BF820012

00000000000091d0 <label_1474>:
	v_mov_b32_e32 v56, v230                                    // 0000000091D0: 7E7003E6
	v_mov_b32_e32 v68, v230                                    // 0000000091D4: 7E8803E6
	v_mov_b32_e32 v57, v230                                    // 0000000091D8: 7E7203E6
	v_mov_b32_e32 v69, v230                                    // 0000000091DC: 7E8A03E6
	v_mov_b32_e32 v58, v230                                    // 0000000091E0: 7E7403E6
	v_mov_b32_e32 v70, v230                                    // 0000000091E4: 7E8C03E6
	v_mov_b32_e32 v59, v230                                    // 0000000091E8: 7E7603E6
	v_mov_b32_e32 v71, v230                                    // 0000000091EC: 7E8E03E6
	s_branch label_147D                                        // 0000000091F0: BF820000

00000000000091f4 <label_147D>:
	v_mov_b32_e32 v60, v230                                    // 0000000091F4: 7E7803E6
	v_mov_b32_e32 v72, v230                                    // 0000000091F8: 7E9003E6
	v_mov_b32_e32 v61, v230                                    // 0000000091FC: 7E7A03E6
	v_mov_b32_e32 v73, v230                                    // 000000009200: 7E9203E6
	v_mov_b32_e32 v62, v230                                    // 000000009204: 7E7C03E6
	v_mov_b32_e32 v74, v230                                    // 000000009208: 7E9403E6
	v_mov_b32_e32 v63, v230                                    // 00000000920C: 7E7E03E6
	v_mov_b32_e32 v75, v230                                    // 000000009210: 7E9603E6
	s_branch label_1486                                        // 000000009214: BF820000

0000000000009218 <label_1486>:
	s_waitcnt lgkmcnt(8)                                       // 000000009218: BF8CC87F
	s_barrier                                                  // 00000000921C: BF8A0000
	v_mfma_f32_16x16x16_bf16 v[76:79], v[108:109], a[72:73], 0 // 000000009220: D3E1004C 1202916C
	v_fma_f32 v52, v52, s57, -v140                             // 000000009228: D1CB0034 86307334
	v_fma_f32 v53, v53, s57, -v141                             // 000000009230: D1CB0035 86347335
	v_fma_f32 v54, v54, s57, -v142                             // 000000009238: D1CB0036 86387336
	v_fma_f32 v55, v55, s57, -v143                             // 000000009240: D1CB0037 863C7337
	v_fma_f32 v56, v56, s57, -v140                             // 000000009248: D1CB0038 86307338
	v_fma_f32 v57, v57, s57, -v141                             // 000000009250: D1CB0039 86347339
	v_mfma_f32_16x16x16_bf16 v[76:79], v[110:111], a[74:75], v[76:79]// 000000009258: D3E1004C 1532956E
	ds_read_b128 a[96:99], v18 offset:4352                     // 000000009260: DBFE1100 60000012
	ds_read_b128 a[100:103], v18 offset:4864                   // 000000009268: DBFE1300 64000012
	v_mfma_f32_16x16x16_bf16 v[76:79], v[112:113], a[76:77], v[76:79]// 000000009270: D3E1004C 15329970
	v_fma_f32 v58, v58, s57, -v142                             // 000000009278: D1CB003A 8638733A
	v_fma_f32 v59, v59, s57, -v143                             // 000000009280: D1CB003B 863C733B
	v_fma_f32 v60, v60, s57, -v140                             // 000000009288: D1CB003C 8630733C
	v_fma_f32 v61, v61, s57, -v141                             // 000000009290: D1CB003D 8634733D
	v_fma_f32 v62, v62, s57, -v142                             // 000000009298: D1CB003E 8638733E
	v_fma_f32 v63, v63, s57, -v143                             // 0000000092A0: D1CB003F 863C733F
	v_mfma_f32_16x16x16_bf16 v[76:79], v[114:115], a[78:79], v[76:79]// 0000000092A8: D3E1004C 15329D72
	v_fma_f32 v64, v64, s57, -v144                             // 0000000092B0: D1CB0040 86407340
	v_fma_f32 v65, v65, s57, -v145                             // 0000000092B8: D1CB0041 86447341
	v_fma_f32 v66, v66, s57, -v146                             // 0000000092C0: D1CB0042 86487342
	v_fma_f32 v67, v67, s57, -v147                             // 0000000092C8: D1CB0043 864C7343
	v_fma_f32 v68, v68, s57, -v144                             // 0000000092D0: D1CB0044 86407344
	v_fma_f32 v69, v69, s57, -v145                             // 0000000092D8: D1CB0045 86447345
	v_mfma_f32_16x16x16_bf16 v[80:83], v[108:109], a[80:81], 0 // 0000000092E0: D3E10050 1202A16C
	v_fma_f32 v70, v70, s57, -v146                             // 0000000092E8: D1CB0046 86487346
	v_fma_f32 v71, v71, s57, -v147                             // 0000000092F0: D1CB0047 864C7347
	v_fma_f32 v72, v72, s57, -v144                             // 0000000092F8: D1CB0048 86407348
	v_fma_f32 v73, v73, s57, -v145                             // 000000009300: D1CB0049 86447349
	v_fma_f32 v74, v74, s57, -v146                             // 000000009308: D1CB004A 8648734A
	v_fma_f32 v75, v75, s57, -v147                             // 000000009310: D1CB004B 864C734B
	v_mfma_f32_16x16x16_bf16 v[80:83], v[110:111], a[82:83], v[80:83]// 000000009318: D3E10050 1542A56E
	ds_read_b128 a[104:107], v18 offset:6528                   // 000000009320: DBFE1980 68000012
	ds_read_b128 a[108:111], v18 offset:7040                   // 000000009328: DBFE1B80 6C000012
	v_mfma_f32_16x16x16_bf16 v[80:83], v[112:113], a[84:85], v[80:83]// 000000009330: D3E10050 1542A970
	v_exp_f32_e32 v52, v52                                     // 000000009338: 7E684134
	v_exp_f32_e32 v53, v53                                     // 00000000933C: 7E6A4135
	v_mfma_f32_16x16x16_bf16 v[80:83], v[114:115], a[86:87], v[80:83]// 000000009340: D3E10050 1542AD72
	v_exp_f32_e32 v54, v54                                     // 000000009348: 7E6C4136
	v_exp_f32_e32 v55, v55                                     // 00000000934C: 7E6E4137
	v_mfma_f32_16x16x16_bf16 v[84:87], v[108:109], a[88:89], 0 // 000000009350: D3E10054 1202B16C
	v_exp_f32_e32 v56, v56                                     // 000000009358: 7E704138
	v_exp_f32_e32 v57, v57                                     // 00000000935C: 7E724139
	v_mfma_f32_16x16x16_bf16 v[84:87], v[110:111], a[90:91], v[84:87]// 000000009360: D3E10054 1552B56E
	ds_read_b32 v156, v25 offset:31232                         // 000000009368: D86C7A00 9C000019
	ds_read_b32 v157, v25 offset:31248                         // 000000009370: D86C7A10 9D000019
	v_mfma_f32_16x16x16_bf16 v[84:87], v[112:113], a[92:93], v[84:87]// 000000009378: D3E10054 1552B970
	v_exp_f32_e32 v58, v58                                     // 000000009380: 7E74413A
	v_exp_f32_e32 v59, v59                                     // 000000009384: 7E76413B
	v_mfma_f32_16x16x16_bf16 v[84:87], v[114:115], a[94:95], v[84:87]// 000000009388: D3E10054 1552BD72
	ds_read_b32 v158, v25 offset:31264                         // 000000009390: D86C7A20 9E000019
	ds_read_b32 v159, v25 offset:31280                         // 000000009398: D86C7A30 9F000019
	v_mfma_f32_16x16x16_bf16 v[88:91], v[116:117], a[72:73], 0 // 0000000093A0: D3E10058 12029174
	v_exp_f32_e32 v60, v60                                     // 0000000093A8: 7E78413C
	v_exp_f32_e32 v61, v61                                     // 0000000093AC: 7E7A413D
	v_mfma_f32_16x16x16_bf16 v[88:91], v[118:119], a[74:75], v[88:91]// 0000000093B0: D3E10058 15629576
	v_exp_f32_e32 v62, v62                                     // 0000000093B8: 7E7C413E
	v_exp_f32_e32 v63, v63                                     // 0000000093BC: 7E7E413F
	v_mfma_f32_16x16x16_bf16 v[88:91], v[120:121], a[76:77], v[88:91]// 0000000093C0: D3E10058 15629978
	v_exp_f32_e32 v64, v64                                     // 0000000093C8: 7E804140
	v_exp_f32_e32 v65, v65                                     // 0000000093CC: 7E824141
	v_mfma_f32_16x16x16_bf16 v[88:91], v[122:123], a[78:79], v[88:91]// 0000000093D0: D3E10058 15629D7A
	v_exp_f32_e32 v66, v66                                     // 0000000093D8: 7E844142
	v_exp_f32_e32 v67, v67                                     // 0000000093DC: 7E864143
	v_mfma_f32_16x16x16_bf16 v[92:95], v[116:117], a[80:81], 0 // 0000000093E0: D3E1005C 1202A174
	v_exp_f32_e32 v68, v68                                     // 0000000093E8: 7E884144
	v_exp_f32_e32 v69, v69                                     // 0000000093EC: 7E8A4145
	v_mfma_f32_16x16x16_bf16 v[92:95], v[118:119], a[82:83], v[92:95]// 0000000093F0: D3E1005C 1572A576
	v_exp_f32_e32 v70, v70                                     // 0000000093F8: 7E8C4146
	v_exp_f32_e32 v71, v71                                     // 0000000093FC: 7E8E4147
	v_mfma_f32_16x16x16_bf16 v[92:95], v[120:121], a[84:85], v[92:95]// 000000009400: D3E1005C 1572A978
	v_exp_f32_e32 v72, v72                                     // 000000009408: 7E904148
	v_exp_f32_e32 v73, v73                                     // 00000000940C: 7E924149
	v_mfma_f32_16x16x16_bf16 v[92:95], v[122:123], a[86:87], v[92:95]// 000000009410: D3E1005C 1572AD7A
	v_exp_f32_e32 v74, v74                                     // 000000009418: 7E94414A
	v_exp_f32_e32 v75, v75                                     // 00000000941C: 7E96414B
	v_mfma_f32_16x16x16_bf16 v[96:99], v[116:117], a[88:89], 0 // 000000009420: D3E10060 1202B174
	v_cmp_u_f32_e64 s[74:75], v52, v52                         // 000000009428: D048004A 00026934
	v_bfe_u32 v226, v52, 16, 1                                 // 000000009430: D1C800E2 02052134
	v_add3_u32 v226, v52, v226, v229                           // 000000009438: D1FF00E2 0797C534
	v_cndmask_b32_e64 v32, v226, v228, s[74:75]                // 000000009440: D1000020 012BC9E2
	v_lshrrev_b32_e32 v32, 16, v32                             // 000000009448: 20404090
	v_cmp_u_f32_e64 s[74:75], v53, v53                         // 00000000944C: D048004A 00026B35
	v_bfe_u32 v226, v53, 16, 1                                 // 000000009454: D1C800E2 02052135
	v_add3_u32 v226, v53, v226, v229                           // 00000000945C: D1FF00E2 0797C535
	v_cndmask_b32_e64 v33, v226, v228, s[74:75]                // 000000009464: D1000021 012BC9E2
	v_and_or_b32 v164, v33, v227, v32                          // 00000000946C: D20100A4 0483C721
	v_cmp_u_f32_e64 s[74:75], v54, v54                         // 000000009474: D048004A 00026D36
	v_bfe_u32 v226, v54, 16, 1                                 // 00000000947C: D1C800E2 02052136
	v_add3_u32 v226, v54, v226, v229                           // 000000009484: D1FF00E2 0797C536
	v_cndmask_b32_e64 v32, v226, v228, s[74:75]                // 00000000948C: D1000020 012BC9E2
	v_lshrrev_b32_e32 v32, 16, v32                             // 000000009494: 20404090
	v_cmp_u_f32_e64 s[74:75], v55, v55                         // 000000009498: D048004A 00026F37
	v_bfe_u32 v226, v55, 16, 1                                 // 0000000094A0: D1C800E2 02052137
	v_add3_u32 v226, v55, v226, v229                           // 0000000094A8: D1FF00E2 0797C537
	v_cndmask_b32_e64 v33, v226, v228, s[74:75]                // 0000000094B0: D1000021 012BC9E2
	v_and_or_b32 v165, v33, v227, v32                          // 0000000094B8: D20100A5 0483C721
	v_cmp_u_f32_e64 s[74:75], v56, v56                         // 0000000094C0: D048004A 00027138
	v_bfe_u32 v226, v56, 16, 1                                 // 0000000094C8: D1C800E2 02052138
	v_add3_u32 v226, v56, v226, v229                           // 0000000094D0: D1FF00E2 0797C538
	v_cndmask_b32_e64 v32, v226, v228, s[74:75]                // 0000000094D8: D1000020 012BC9E2
	v_lshrrev_b32_e32 v32, 16, v32                             // 0000000094E0: 20404090
	v_cmp_u_f32_e64 s[74:75], v57, v57                         // 0000000094E4: D048004A 00027339
	v_bfe_u32 v226, v57, 16, 1                                 // 0000000094EC: D1C800E2 02052139
	v_add3_u32 v226, v57, v226, v229                           // 0000000094F4: D1FF00E2 0797C539
	v_cndmask_b32_e64 v33, v226, v228, s[74:75]                // 0000000094FC: D1000021 012BC9E2
	v_and_or_b32 v166, v33, v227, v32                          // 000000009504: D20100A6 0483C721
	v_cmp_u_f32_e64 s[74:75], v58, v58                         // 00000000950C: D048004A 0002753A
	v_bfe_u32 v226, v58, 16, 1                                 // 000000009514: D1C800E2 0205213A
	v_add3_u32 v226, v58, v226, v229                           // 00000000951C: D1FF00E2 0797C53A
	v_cndmask_b32_e64 v32, v226, v228, s[74:75]                // 000000009524: D1000020 012BC9E2
	v_lshrrev_b32_e32 v32, 16, v32                             // 00000000952C: 20404090
	v_cmp_u_f32_e64 s[74:75], v59, v59                         // 000000009530: D048004A 0002773B
	v_bfe_u32 v226, v59, 16, 1                                 // 000000009538: D1C800E2 0205213B
	v_add3_u32 v226, v59, v226, v229                           // 000000009540: D1FF00E2 0797C53B
	v_cndmask_b32_e64 v33, v226, v228, s[74:75]                // 000000009548: D1000021 012BC9E2
	v_and_or_b32 v167, v33, v227, v32                          // 000000009550: D20100A7 0483C721
	v_cmp_u_f32_e64 s[74:75], v60, v60                         // 000000009558: D048004A 0002793C
	v_bfe_u32 v226, v60, 16, 1                                 // 000000009560: D1C800E2 0205213C
	v_add3_u32 v226, v60, v226, v229                           // 000000009568: D1FF00E2 0797C53C
	v_cndmask_b32_e64 v32, v226, v228, s[74:75]                // 000000009570: D1000020 012BC9E2
	v_lshrrev_b32_e32 v32, 16, v32                             // 000000009578: 20404090
	v_cmp_u_f32_e64 s[74:75], v61, v61                         // 00000000957C: D048004A 00027B3D
	v_bfe_u32 v226, v61, 16, 1                                 // 000000009584: D1C800E2 0205213D
	v_add3_u32 v226, v61, v226, v229                           // 00000000958C: D1FF00E2 0797C53D
	v_cndmask_b32_e64 v33, v226, v228, s[74:75]                // 000000009594: D1000021 012BC9E2
	v_and_or_b32 v168, v33, v227, v32                          // 00000000959C: D20100A8 0483C721
	v_cmp_u_f32_e64 s[74:75], v62, v62                         // 0000000095A4: D048004A 00027D3E
	v_bfe_u32 v226, v62, 16, 1                                 // 0000000095AC: D1C800E2 0205213E
	v_add3_u32 v226, v62, v226, v229                           // 0000000095B4: D1FF00E2 0797C53E
	v_cndmask_b32_e64 v32, v226, v228, s[74:75]                // 0000000095BC: D1000020 012BC9E2
	v_lshrrev_b32_e32 v32, 16, v32                             // 0000000095C4: 20404090
	v_cmp_u_f32_e64 s[74:75], v63, v63                         // 0000000095C8: D048004A 00027F3F
	v_bfe_u32 v226, v63, 16, 1                                 // 0000000095D0: D1C800E2 0205213F
	v_add3_u32 v226, v63, v226, v229                           // 0000000095D8: D1FF00E2 0797C53F
	v_cndmask_b32_e64 v33, v226, v228, s[74:75]                // 0000000095E0: D1000021 012BC9E2
	v_and_or_b32 v169, v33, v227, v32                          // 0000000095E8: D20100A9 0483C721
	v_mfma_f32_16x16x16_bf16 v[96:99], v[118:119], a[90:91], v[96:99]// 0000000095F0: D3E10060 1582B576
	v_cmp_u_f32_e64 s[74:75], v64, v64                         // 0000000095F8: D048004A 00028140
	v_bfe_u32 v226, v64, 16, 1                                 // 000000009600: D1C800E2 02052140
	v_add3_u32 v226, v64, v226, v229                           // 000000009608: D1FF00E2 0797C540
	v_cndmask_b32_e64 v32, v226, v228, s[74:75]                // 000000009610: D1000020 012BC9E2
	v_lshrrev_b32_e32 v32, 16, v32                             // 000000009618: 20404090
	v_cmp_u_f32_e64 s[74:75], v65, v65                         // 00000000961C: D048004A 00028341
	v_bfe_u32 v226, v65, 16, 1                                 // 000000009624: D1C800E2 02052141
	v_add3_u32 v226, v65, v226, v229                           // 00000000962C: D1FF00E2 0797C541
	v_cndmask_b32_e64 v33, v226, v228, s[74:75]                // 000000009634: D1000021 012BC9E2
	v_and_or_b32 v170, v33, v227, v32                          // 00000000963C: D20100AA 0483C721
	v_cmp_u_f32_e64 s[74:75], v66, v66                         // 000000009644: D048004A 00028542
	v_bfe_u32 v226, v66, 16, 1                                 // 00000000964C: D1C800E2 02052142
	v_add3_u32 v226, v66, v226, v229                           // 000000009654: D1FF00E2 0797C542
	v_cndmask_b32_e64 v32, v226, v228, s[74:75]                // 00000000965C: D1000020 012BC9E2
	v_lshrrev_b32_e32 v32, 16, v32                             // 000000009664: 20404090
	v_cmp_u_f32_e64 s[74:75], v67, v67                         // 000000009668: D048004A 00028743
	v_bfe_u32 v226, v67, 16, 1                                 // 000000009670: D1C800E2 02052143
	v_add3_u32 v226, v67, v226, v229                           // 000000009678: D1FF00E2 0797C543
	v_cndmask_b32_e64 v33, v226, v228, s[74:75]                // 000000009680: D1000021 012BC9E2
	v_and_or_b32 v171, v33, v227, v32                          // 000000009688: D20100AB 0483C721
	v_cmp_u_f32_e64 s[74:75], v68, v68                         // 000000009690: D048004A 00028944
	v_bfe_u32 v226, v68, 16, 1                                 // 000000009698: D1C800E2 02052144
	v_add3_u32 v226, v68, v226, v229                           // 0000000096A0: D1FF00E2 0797C544
	v_cndmask_b32_e64 v32, v226, v228, s[74:75]                // 0000000096A8: D1000020 012BC9E2
	v_lshrrev_b32_e32 v32, 16, v32                             // 0000000096B0: 20404090
	v_cmp_u_f32_e64 s[74:75], v69, v69                         // 0000000096B4: D048004A 00028B45
	v_bfe_u32 v226, v69, 16, 1                                 // 0000000096BC: D1C800E2 02052145
	v_add3_u32 v226, v69, v226, v229                           // 0000000096C4: D1FF00E2 0797C545
	v_cndmask_b32_e64 v33, v226, v228, s[74:75]                // 0000000096CC: D1000021 012BC9E2
	v_and_or_b32 v172, v33, v227, v32                          // 0000000096D4: D20100AC 0483C721
	v_cmp_u_f32_e64 s[74:75], v70, v70                         // 0000000096DC: D048004A 00028D46
	v_bfe_u32 v226, v70, 16, 1                                 // 0000000096E4: D1C800E2 02052146
	v_add3_u32 v226, v70, v226, v229                           // 0000000096EC: D1FF00E2 0797C546
	v_cndmask_b32_e64 v32, v226, v228, s[74:75]                // 0000000096F4: D1000020 012BC9E2
	v_lshrrev_b32_e32 v32, 16, v32                             // 0000000096FC: 20404090
	v_cmp_u_f32_e64 s[74:75], v71, v71                         // 000000009700: D048004A 00028F47
	v_bfe_u32 v226, v71, 16, 1                                 // 000000009708: D1C800E2 02052147
	v_add3_u32 v226, v71, v226, v229                           // 000000009710: D1FF00E2 0797C547
	v_cndmask_b32_e64 v33, v226, v228, s[74:75]                // 000000009718: D1000021 012BC9E2
	v_and_or_b32 v173, v33, v227, v32                          // 000000009720: D20100AD 0483C721
	v_cmp_u_f32_e64 s[74:75], v72, v72                         // 000000009728: D048004A 00029148
	v_bfe_u32 v226, v72, 16, 1                                 // 000000009730: D1C800E2 02052148
	v_add3_u32 v226, v72, v226, v229                           // 000000009738: D1FF00E2 0797C548
	v_cndmask_b32_e64 v32, v226, v228, s[74:75]                // 000000009740: D1000020 012BC9E2
	v_lshrrev_b32_e32 v32, 16, v32                             // 000000009748: 20404090
	v_cmp_u_f32_e64 s[74:75], v73, v73                         // 00000000974C: D048004A 00029349
	v_bfe_u32 v226, v73, 16, 1                                 // 000000009754: D1C800E2 02052149
	v_add3_u32 v226, v73, v226, v229                           // 00000000975C: D1FF00E2 0797C549
	v_cndmask_b32_e64 v33, v226, v228, s[74:75]                // 000000009764: D1000021 012BC9E2
	v_and_or_b32 v174, v33, v227, v32                          // 00000000976C: D20100AE 0483C721
	v_cmp_u_f32_e64 s[74:75], v74, v74                         // 000000009774: D048004A 0002954A
	v_bfe_u32 v226, v74, 16, 1                                 // 00000000977C: D1C800E2 0205214A
	v_add3_u32 v226, v74, v226, v229                           // 000000009784: D1FF00E2 0797C54A
	v_cndmask_b32_e64 v32, v226, v228, s[74:75]                // 00000000978C: D1000020 012BC9E2
	v_lshrrev_b32_e32 v32, 16, v32                             // 000000009794: 20404090
	v_cmp_u_f32_e64 s[74:75], v75, v75                         // 000000009798: D048004A 0002974B
	v_bfe_u32 v226, v75, 16, 1                                 // 0000000097A0: D1C800E2 0205214B
	v_add3_u32 v226, v75, v226, v229                           // 0000000097A8: D1FF00E2 0797C54B
	v_cndmask_b32_e64 v33, v226, v228, s[74:75]                // 0000000097B0: D1000021 012BC9E2
	v_and_or_b32 v175, v33, v227, v32                          // 0000000097B8: D20100AF 0483C721
	v_mfma_f32_16x16x16_bf16 v[96:99], v[120:121], a[92:93], v[96:99]// 0000000097C0: D3E10060 1582B978
	s_add_u32 s32, s66, s32                                    // 0000000097C8: 80202042
	s_addc_u32 s33, 0, s33                                     // 0000000097CC: 82212180
	v_mfma_f32_16x16x16_bf16 v[96:99], v[122:123], a[94:95], v[96:99]// 0000000097D0: D3E10060 1582BD7A
	s_waitcnt lgkmcnt(0)                                       // 0000000097D8: BF8CC07F
	s_barrier                                                  // 0000000097DC: BF8A0000
	v_mfma_f32_16x16x16_bf16 v[178:181], v[124:125], v[164:165], v[178:181]// 0000000097E0: D3E100B2 06CB497C
	v_subrev_f32_dpp v76, v176, v76 quad_perm:[0,0,0,0] row_mask:0xf bank_mask:0xf// 0000000097E8: 069898FA FF0000B0
	v_subrev_f32_dpp v77, v176, v77 quad_perm:[1,1,1,1] row_mask:0xf bank_mask:0xf// 0000000097F0: 069A9AFA FF0055B0
	v_subrev_f32_dpp v78, v176, v78 quad_perm:[2,2,2,2] row_mask:0xf bank_mask:0xf// 0000000097F8: 069C9CFA FF00AAB0
	v_subrev_f32_dpp v79, v176, v79 quad_perm:[3,3,3,3] row_mask:0xf bank_mask:0xf// 000000009800: 069E9EFA FF00FFB0
	v_subrev_f32_dpp v80, v176, v80 quad_perm:[0,0,0,0] row_mask:0xf bank_mask:0xf// 000000009808: 06A0A0FA FF0000B0
	v_subrev_f32_dpp v81, v176, v81 quad_perm:[1,1,1,1] row_mask:0xf bank_mask:0xf// 000000009810: 06A2A2FA FF0055B0
	v_mfma_f32_16x16x16_bf16 v[182:185], v[126:127], v[164:165], v[182:185]// 000000009818: D3E100B6 06DB497E
	v_subrev_f32_dpp v82, v176, v82 quad_perm:[2,2,2,2] row_mask:0xf bank_mask:0xf// 000000009820: 06A4A4FA FF00AAB0
	v_subrev_f32_dpp v83, v176, v83 quad_perm:[3,3,3,3] row_mask:0xf bank_mask:0xf// 000000009828: 06A6A6FA FF00FFB0
	v_subrev_f32_dpp v84, v176, v84 quad_perm:[0,0,0,0] row_mask:0xf bank_mask:0xf// 000000009830: 06A8A8FA FF0000B0
	v_subrev_f32_dpp v85, v176, v85 quad_perm:[1,1,1,1] row_mask:0xf bank_mask:0xf// 000000009838: 06AAAAFA FF0055B0
	v_subrev_f32_dpp v86, v176, v86 quad_perm:[2,2,2,2] row_mask:0xf bank_mask:0xf// 000000009840: 06ACACFA FF00AAB0
	v_subrev_f32_dpp v87, v176, v87 quad_perm:[3,3,3,3] row_mask:0xf bank_mask:0xf// 000000009848: 06AEAEFA FF00FFB0
	v_mfma_f32_16x16x16_bf16 v[186:189], v[128:129], v[164:165], v[186:189]// 000000009850: D3E100BA 06EB4980
	v_mul_f32_e32 v76, v52, v76                                // 000000009858: 0A989934
	v_mul_f32_e32 v77, v53, v77                                // 00000000985C: 0A9A9B35
	v_mul_f32_e32 v78, v54, v78                                // 000000009860: 0A9C9D36
	v_mul_f32_e32 v79, v55, v79                                // 000000009864: 0A9E9F37
	v_mul_f32_e32 v80, v56, v80                                // 000000009868: 0AA0A138
	v_mul_f32_e32 v81, v57, v81                                // 00000000986C: 0AA2A339
	v_mfma_f32_16x16x16_bf16 v[190:193], v[130:131], v[164:165], v[190:193]// 000000009870: D3E100BE 06FB4982
	v_mul_f32_e32 v82, v58, v82                                // 000000009878: 0AA4A53A
	v_mul_f32_e32 v83, v59, v83                                // 00000000987C: 0AA6A73B
	v_mul_f32_e32 v84, v60, v84                                // 000000009880: 0AA8A93C
	v_mul_f32_e32 v85, v61, v85                                // 000000009884: 0AAAAB3D
	v_mul_f32_e32 v86, v62, v86                                // 000000009888: 0AACAD3E
	v_mul_f32_e32 v87, v63, v87                                // 00000000988C: 0AAEAF3F
	v_mfma_f32_16x16x16_bf16 v[194:197], v[124:125], v[166:167], v[194:197]// 000000009890: D3E100C2 070B4D7C
	v_cmp_u_f32_e64 s[74:75], v76, v76                         // 000000009898: D048004A 0002994C
	v_bfe_u32 v226, v76, 16, 1                                 // 0000000098A0: D1C800E2 0205214C
	v_add3_u32 v226, v76, v226, v229                           // 0000000098A8: D1FF00E2 0797C54C
	v_cndmask_b32_e64 v32, v226, v228, s[74:75]                // 0000000098B0: D1000020 012BC9E2
	v_lshrrev_b32_e32 v32, 16, v32                             // 0000000098B8: 20404090
	v_cmp_u_f32_e64 s[74:75], v77, v77                         // 0000000098BC: D048004A 00029B4D
	v_bfe_u32 v226, v77, 16, 1                                 // 0000000098C4: D1C800E2 0205214D
	v_add3_u32 v226, v77, v226, v229                           // 0000000098CC: D1FF00E2 0797C54D
	v_cndmask_b32_e64 v33, v226, v228, s[74:75]                // 0000000098D4: D1000021 012BC9E2
	v_and_or_b32 v76, v33, v227, v32                           // 0000000098DC: D201004C 0483C721
	v_cmp_u_f32_e64 s[74:75], v78, v78                         // 0000000098E4: D048004A 00029D4E
	v_bfe_u32 v226, v78, 16, 1                                 // 0000000098EC: D1C800E2 0205214E
	v_add3_u32 v226, v78, v226, v229                           // 0000000098F4: D1FF00E2 0797C54E
	v_cndmask_b32_e64 v32, v226, v228, s[74:75]                // 0000000098FC: D1000020 012BC9E2
	v_lshrrev_b32_e32 v32, 16, v32                             // 000000009904: 20404090
	v_cmp_u_f32_e64 s[74:75], v79, v79                         // 000000009908: D048004A 00029F4F
	v_bfe_u32 v226, v79, 16, 1                                 // 000000009910: D1C800E2 0205214F
	v_add3_u32 v226, v79, v226, v229                           // 000000009918: D1FF00E2 0797C54F
	v_cndmask_b32_e64 v33, v226, v228, s[74:75]                // 000000009920: D1000021 012BC9E2
	v_and_or_b32 v77, v33, v227, v32                           // 000000009928: D201004D 0483C721
	v_cmp_u_f32_e64 s[74:75], v80, v80                         // 000000009930: D048004A 0002A150
	v_bfe_u32 v226, v80, 16, 1                                 // 000000009938: D1C800E2 02052150
	v_add3_u32 v226, v80, v226, v229                           // 000000009940: D1FF00E2 0797C550
	v_cndmask_b32_e64 v32, v226, v228, s[74:75]                // 000000009948: D1000020 012BC9E2
	v_lshrrev_b32_e32 v32, 16, v32                             // 000000009950: 20404090
	v_cmp_u_f32_e64 s[74:75], v81, v81                         // 000000009954: D048004A 0002A351
	v_bfe_u32 v226, v81, 16, 1                                 // 00000000995C: D1C800E2 02052151
	v_add3_u32 v226, v81, v226, v229                           // 000000009964: D1FF00E2 0797C551
	v_cndmask_b32_e64 v33, v226, v228, s[74:75]                // 00000000996C: D1000021 012BC9E2
	v_and_or_b32 v78, v33, v227, v32                           // 000000009974: D201004E 0483C721
	v_cmp_u_f32_e64 s[74:75], v82, v82                         // 00000000997C: D048004A 0002A552
	v_bfe_u32 v226, v82, 16, 1                                 // 000000009984: D1C800E2 02052152
	v_add3_u32 v226, v82, v226, v229                           // 00000000998C: D1FF00E2 0797C552
	v_cndmask_b32_e64 v32, v226, v228, s[74:75]                // 000000009994: D1000020 012BC9E2
	v_lshrrev_b32_e32 v32, 16, v32                             // 00000000999C: 20404090
	v_cmp_u_f32_e64 s[74:75], v83, v83                         // 0000000099A0: D048004A 0002A753
	v_bfe_u32 v226, v83, 16, 1                                 // 0000000099A8: D1C800E2 02052153
	v_add3_u32 v226, v83, v226, v229                           // 0000000099B0: D1FF00E2 0797C553
	v_cndmask_b32_e64 v33, v226, v228, s[74:75]                // 0000000099B8: D1000021 012BC9E2
	v_and_or_b32 v79, v33, v227, v32                           // 0000000099C0: D201004F 0483C721
	v_cmp_u_f32_e64 s[74:75], v84, v84                         // 0000000099C8: D048004A 0002A954
	v_bfe_u32 v226, v84, 16, 1                                 // 0000000099D0: D1C800E2 02052154
	v_add3_u32 v226, v84, v226, v229                           // 0000000099D8: D1FF00E2 0797C554
	v_cndmask_b32_e64 v32, v226, v228, s[74:75]                // 0000000099E0: D1000020 012BC9E2
	v_lshrrev_b32_e32 v32, 16, v32                             // 0000000099E8: 20404090
	v_cmp_u_f32_e64 s[74:75], v85, v85                         // 0000000099EC: D048004A 0002AB55
	v_bfe_u32 v226, v85, 16, 1                                 // 0000000099F4: D1C800E2 02052155
	v_add3_u32 v226, v85, v226, v229                           // 0000000099FC: D1FF00E2 0797C555
	v_cndmask_b32_e64 v33, v226, v228, s[74:75]                // 000000009A04: D1000021 012BC9E2
	v_and_or_b32 v80, v33, v227, v32                           // 000000009A0C: D2010050 0483C721
	v_cmp_u_f32_e64 s[74:75], v86, v86                         // 000000009A14: D048004A 0002AD56
	v_bfe_u32 v226, v86, 16, 1                                 // 000000009A1C: D1C800E2 02052156
	v_add3_u32 v226, v86, v226, v229                           // 000000009A24: D1FF00E2 0797C556
	v_cndmask_b32_e64 v32, v226, v228, s[74:75]                // 000000009A2C: D1000020 012BC9E2
	v_lshrrev_b32_e32 v32, 16, v32                             // 000000009A34: 20404090
	v_cmp_u_f32_e64 s[74:75], v87, v87                         // 000000009A38: D048004A 0002AF57
	v_bfe_u32 v226, v87, 16, 1                                 // 000000009A40: D1C800E2 02052157
	v_add3_u32 v226, v87, v226, v229                           // 000000009A48: D1FF00E2 0797C557
	v_cndmask_b32_e64 v33, v226, v228, s[74:75]                // 000000009A50: D1000021 012BC9E2
	v_and_or_b32 v81, v33, v227, v32                           // 000000009A58: D2010051 0483C721
	v_mfma_f32_16x16x16_bf16 v[198:201], v[126:127], v[166:167], v[198:201]// 000000009A60: D3E100C6 071B4D7E
	v_mov_b32_dpp v22, v76 quad_perm:[1,0,3,2] row_mask:0xf bank_mask:0xf// 000000009A68: 7E2C02FA FF00B14C
	v_perm_b32 v52, v22, v76, v21                              // 000000009A70: D1ED0034 04569916
	v_mov_b32_dpp v22, v77 quad_perm:[1,0,3,2] row_mask:0xf bank_mask:0xf// 000000009A78: 7E2C02FA FF00B14D
	v_perm_b32 v53, v22, v77, v21                              // 000000009A80: D1ED0035 04569B16
	v_mov_b32_dpp v22, v78 quad_perm:[1,0,3,2] row_mask:0xf bank_mask:0xf// 000000009A88: 7E2C02FA FF00B14E
	v_perm_b32 v54, v22, v78, v21                              // 000000009A90: D1ED0036 04569D16
	v_mfma_f32_16x16x16_bf16 v[202:205], v[128:129], v[166:167], v[202:205]// 000000009A98: D3E100CA 072B4D80
	ds_write_b32 v24, v52 offset:17408                         // 000000009AA0: D81A4400 00003418
	ds_write_b32 v24, v53 offset:17952                         // 000000009AA8: D81A4620 00003518
	v_mfma_f32_16x16x16_bf16 v[206:209], v[130:131], v[166:167], v[206:209]// 000000009AB0: D3E100CE 073B4D82
	v_mov_b32_dpp v22, v79 quad_perm:[1,0,3,2] row_mask:0xf bank_mask:0xf// 000000009AB8: 7E2C02FA FF00B14F
	v_perm_b32 v55, v22, v79, v21                              // 000000009AC0: D1ED0037 04569F16
	v_mov_b32_dpp v22, v80 quad_perm:[1,0,3,2] row_mask:0xf bank_mask:0xf// 000000009AC8: 7E2C02FA FF00B150
	v_perm_b32 v56, v22, v80, v21                              // 000000009AD0: D1ED0038 0456A116
	v_mov_b32_dpp v22, v81 quad_perm:[1,0,3,2] row_mask:0xf bank_mask:0xf// 000000009AD8: 7E2C02FA FF00B151
	v_perm_b32 v57, v22, v81, v21                              // 000000009AE0: D1ED0039 0456A316
	v_mfma_f32_16x16x16_bf16 v[210:213], v[124:125], v[168:169], v[210:213]// 000000009AE8: D3E100D2 074B517C
	ds_write_b32 v24, v54 offset:19712                         // 000000009AF0: D81A4D00 00003618
	ds_write_b32 v24, v55 offset:20256                         // 000000009AF8: D81A4F20 00003718
	v_mfma_f32_16x16x16_bf16 v[214:217], v[126:127], v[168:169], v[214:217]// 000000009B00: D3E100D6 075B517E
	v_subrev_f32_dpp v88, v177, v88 quad_perm:[0,0,0,0] row_mask:0xf bank_mask:0xf// 000000009B08: 06B0B0FA FF0000B1
	v_subrev_f32_dpp v89, v177, v89 quad_perm:[1,1,1,1] row_mask:0xf bank_mask:0xf// 000000009B10: 06B2B2FA FF0055B1
	v_subrev_f32_dpp v90, v177, v90 quad_perm:[2,2,2,2] row_mask:0xf bank_mask:0xf// 000000009B18: 06B4B4FA FF00AAB1
	v_subrev_f32_dpp v91, v177, v91 quad_perm:[3,3,3,3] row_mask:0xf bank_mask:0xf// 000000009B20: 06B6B6FA FF00FFB1
	v_subrev_f32_dpp v92, v177, v92 quad_perm:[0,0,0,0] row_mask:0xf bank_mask:0xf// 000000009B28: 06B8B8FA FF0000B1
	v_subrev_f32_dpp v93, v177, v93 quad_perm:[1,1,1,1] row_mask:0xf bank_mask:0xf// 000000009B30: 06BABAFA FF0055B1
	v_mfma_f32_16x16x16_bf16 v[218:221], v[128:129], v[168:169], v[218:221]// 000000009B38: D3E100DA 076B5180
	ds_write_b32 v24, v56 offset:22016                         // 000000009B40: D81A5600 00003818
	ds_write_b32 v24, v57 offset:22560                         // 000000009B48: D81A5820 00003918
	v_mfma_f32_16x16x16_bf16 v[222:225], v[130:131], v[168:169], v[222:225]// 000000009B50: D3E100DE 077B5182
	v_subrev_f32_dpp v94, v177, v94 quad_perm:[2,2,2,2] row_mask:0xf bank_mask:0xf// 000000009B58: 06BCBCFA FF00AAB1
	v_subrev_f32_dpp v95, v177, v95 quad_perm:[3,3,3,3] row_mask:0xf bank_mask:0xf// 000000009B60: 06BEBEFA FF00FFB1
	v_subrev_f32_dpp v96, v177, v96 quad_perm:[0,0,0,0] row_mask:0xf bank_mask:0xf// 000000009B68: 06C0C0FA FF0000B1
	v_subrev_f32_dpp v97, v177, v97 quad_perm:[1,1,1,1] row_mask:0xf bank_mask:0xf// 000000009B70: 06C2C2FA FF0055B1
	v_subrev_f32_dpp v98, v177, v98 quad_perm:[2,2,2,2] row_mask:0xf bank_mask:0xf// 000000009B78: 06C4C4FA FF00AAB1
	v_subrev_f32_dpp v99, v177, v99 quad_perm:[3,3,3,3] row_mask:0xf bank_mask:0xf// 000000009B80: 06C6C6FA FF00FFB1
	v_mfma_f32_16x16x16_bf16 v[178:181], v[132:133], v[170:171], v[178:181]// 000000009B88: D3E100B2 06CB5584
	v_mul_f32_e32 v88, v64, v88                                // 000000009B90: 0AB0B140
	v_mul_f32_e32 v89, v65, v89                                // 000000009B94: 0AB2B341
	v_mul_f32_e32 v90, v66, v90                                // 000000009B98: 0AB4B542
	v_mul_f32_e32 v91, v67, v91                                // 000000009B9C: 0AB6B743
	v_mul_f32_e32 v92, v68, v92                                // 000000009BA0: 0AB8B944
	v_mul_f32_e32 v93, v69, v93                                // 000000009BA4: 0ABABB45
	v_mfma_f32_16x16x16_bf16 v[182:185], v[134:135], v[170:171], v[182:185]// 000000009BA8: D3E100B6 06DB5586
	v_mul_f32_e32 v94, v70, v94                                // 000000009BB0: 0ABCBD46
	v_mul_f32_e32 v95, v71, v95                                // 000000009BB4: 0ABEBF47
	v_mul_f32_e32 v96, v72, v96                                // 000000009BB8: 0AC0C148
	v_mul_f32_e32 v97, v73, v97                                // 000000009BBC: 0AC2C349
	v_mul_f32_e32 v98, v74, v98                                // 000000009BC0: 0AC4C54A
	v_mul_f32_e32 v99, v75, v99                                // 000000009BC4: 0AC6C74B
	v_mfma_f32_16x16x16_bf16 v[186:189], v[136:137], v[170:171], v[186:189]// 000000009BC8: D3E100BA 06EB5588
	v_cmp_u_f32_e64 s[74:75], v88, v88                         // 000000009BD0: D048004A 0002B158
	v_bfe_u32 v226, v88, 16, 1                                 // 000000009BD8: D1C800E2 02052158
	v_add3_u32 v226, v88, v226, v229                           // 000000009BE0: D1FF00E2 0797C558
	v_cndmask_b32_e64 v32, v226, v228, s[74:75]                // 000000009BE8: D1000020 012BC9E2
	v_lshrrev_b32_e32 v32, 16, v32                             // 000000009BF0: 20404090
	v_cmp_u_f32_e64 s[74:75], v89, v89                         // 000000009BF4: D048004A 0002B359
	v_bfe_u32 v226, v89, 16, 1                                 // 000000009BFC: D1C800E2 02052159
	v_add3_u32 v226, v89, v226, v229                           // 000000009C04: D1FF00E2 0797C559
	v_cndmask_b32_e64 v33, v226, v228, s[74:75]                // 000000009C0C: D1000021 012BC9E2
	v_and_or_b32 v82, v33, v227, v32                           // 000000009C14: D2010052 0483C721
	v_cmp_u_f32_e64 s[74:75], v90, v90                         // 000000009C1C: D048004A 0002B55A
	v_bfe_u32 v226, v90, 16, 1                                 // 000000009C24: D1C800E2 0205215A
	v_add3_u32 v226, v90, v226, v229                           // 000000009C2C: D1FF00E2 0797C55A
	v_cndmask_b32_e64 v32, v226, v228, s[74:75]                // 000000009C34: D1000020 012BC9E2
	v_lshrrev_b32_e32 v32, 16, v32                             // 000000009C3C: 20404090
	v_cmp_u_f32_e64 s[74:75], v91, v91                         // 000000009C40: D048004A 0002B75B
	v_bfe_u32 v226, v91, 16, 1                                 // 000000009C48: D1C800E2 0205215B
	v_add3_u32 v226, v91, v226, v229                           // 000000009C50: D1FF00E2 0797C55B
	v_cndmask_b32_e64 v33, v226, v228, s[74:75]                // 000000009C58: D1000021 012BC9E2
	v_and_or_b32 v83, v33, v227, v32                           // 000000009C60: D2010053 0483C721
	v_cmp_u_f32_e64 s[74:75], v92, v92                         // 000000009C68: D048004A 0002B95C
	v_bfe_u32 v226, v92, 16, 1                                 // 000000009C70: D1C800E2 0205215C
	v_add3_u32 v226, v92, v226, v229                           // 000000009C78: D1FF00E2 0797C55C
	v_cndmask_b32_e64 v32, v226, v228, s[74:75]                // 000000009C80: D1000020 012BC9E2
	v_lshrrev_b32_e32 v32, 16, v32                             // 000000009C88: 20404090
	v_cmp_u_f32_e64 s[74:75], v93, v93                         // 000000009C8C: D048004A 0002BB5D
	v_bfe_u32 v226, v93, 16, 1                                 // 000000009C94: D1C800E2 0205215D
	v_add3_u32 v226, v93, v226, v229                           // 000000009C9C: D1FF00E2 0797C55D
	v_cndmask_b32_e64 v33, v226, v228, s[74:75]                // 000000009CA4: D1000021 012BC9E2
	v_and_or_b32 v84, v33, v227, v32                           // 000000009CAC: D2010054 0483C721
	v_cmp_u_f32_e64 s[74:75], v94, v94                         // 000000009CB4: D048004A 0002BD5E
	v_bfe_u32 v226, v94, 16, 1                                 // 000000009CBC: D1C800E2 0205215E
	v_add3_u32 v226, v94, v226, v229                           // 000000009CC4: D1FF00E2 0797C55E
	v_cndmask_b32_e64 v32, v226, v228, s[74:75]                // 000000009CCC: D1000020 012BC9E2
	v_lshrrev_b32_e32 v32, 16, v32                             // 000000009CD4: 20404090
	v_cmp_u_f32_e64 s[74:75], v95, v95                         // 000000009CD8: D048004A 0002BF5F
	v_bfe_u32 v226, v95, 16, 1                                 // 000000009CE0: D1C800E2 0205215F
	v_add3_u32 v226, v95, v226, v229                           // 000000009CE8: D1FF00E2 0797C55F
	v_cndmask_b32_e64 v33, v226, v228, s[74:75]                // 000000009CF0: D1000021 012BC9E2
	v_and_or_b32 v85, v33, v227, v32                           // 000000009CF8: D2010055 0483C721
	v_cmp_u_f32_e64 s[74:75], v96, v96                         // 000000009D00: D048004A 0002C160
	v_bfe_u32 v226, v96, 16, 1                                 // 000000009D08: D1C800E2 02052160
	v_add3_u32 v226, v96, v226, v229                           // 000000009D10: D1FF00E2 0797C560
	v_cndmask_b32_e64 v32, v226, v228, s[74:75]                // 000000009D18: D1000020 012BC9E2
	v_lshrrev_b32_e32 v32, 16, v32                             // 000000009D20: 20404090
	v_cmp_u_f32_e64 s[74:75], v97, v97                         // 000000009D24: D048004A 0002C361
	v_bfe_u32 v226, v97, 16, 1                                 // 000000009D2C: D1C800E2 02052161
	v_add3_u32 v226, v97, v226, v229                           // 000000009D34: D1FF00E2 0797C561
	v_cndmask_b32_e64 v33, v226, v228, s[74:75]                // 000000009D3C: D1000021 012BC9E2
	v_and_or_b32 v86, v33, v227, v32                           // 000000009D44: D2010056 0483C721
	v_cmp_u_f32_e64 s[74:75], v98, v98                         // 000000009D4C: D048004A 0002C562
	v_bfe_u32 v226, v98, 16, 1                                 // 000000009D54: D1C800E2 02052162
	v_add3_u32 v226, v98, v226, v229                           // 000000009D5C: D1FF00E2 0797C562
	v_cndmask_b32_e64 v32, v226, v228, s[74:75]                // 000000009D64: D1000020 012BC9E2
	v_lshrrev_b32_e32 v32, 16, v32                             // 000000009D6C: 20404090
	v_cmp_u_f32_e64 s[74:75], v99, v99                         // 000000009D70: D048004A 0002C763
	v_bfe_u32 v226, v99, 16, 1                                 // 000000009D78: D1C800E2 02052163
	v_add3_u32 v226, v99, v226, v229                           // 000000009D80: D1FF00E2 0797C563
	v_cndmask_b32_e64 v33, v226, v228, s[74:75]                // 000000009D88: D1000021 012BC9E2
	v_and_or_b32 v87, v33, v227, v32                           // 000000009D90: D2010057 0483C721
	v_mfma_f32_16x16x16_bf16 v[190:193], v[138:139], v[170:171], v[190:193]// 000000009D98: D3E100BE 06FB558A
	v_mov_b32_dpp v22, v82 quad_perm:[1,0,3,2] row_mask:0xf bank_mask:0xf// 000000009DA0: 7E2C02FA FF00B152
	v_perm_b32 v58, v22, v82, v21                              // 000000009DA8: D1ED003A 0456A516
	v_mov_b32_dpp v22, v83 quad_perm:[1,0,3,2] row_mask:0xf bank_mask:0xf// 000000009DB0: 7E2C02FA FF00B153
	v_perm_b32 v59, v22, v83, v21                              // 000000009DB8: D1ED003B 0456A716
	v_mov_b32_dpp v22, v84 quad_perm:[1,0,3,2] row_mask:0xf bank_mask:0xf// 000000009DC0: 7E2C02FA FF00B154
	v_perm_b32 v60, v22, v84, v21                              // 000000009DC8: D1ED003C 0456A916
	v_mfma_f32_16x16x16_bf16 v[194:197], v[132:133], v[172:173], v[194:197]// 000000009DD0: D3E100C2 070B5984
	ds_write_b32 v24, v58 offset:24320                         // 000000009DD8: D81A5F00 00003A18
	ds_write_b32 v24, v59 offset:24864                         // 000000009DE0: D81A6120 00003B18
	v_mfma_f32_16x16x16_bf16 v[198:201], v[134:135], v[172:173], v[198:201]// 000000009DE8: D3E100C6 071B5986
	v_mov_b32_dpp v22, v85 quad_perm:[1,0,3,2] row_mask:0xf bank_mask:0xf// 000000009DF0: 7E2C02FA FF00B155
	v_perm_b32 v61, v22, v85, v21                              // 000000009DF8: D1ED003D 0456AB16
	v_mov_b32_dpp v22, v86 quad_perm:[1,0,3,2] row_mask:0xf bank_mask:0xf// 000000009E00: 7E2C02FA FF00B156
	v_perm_b32 v62, v22, v86, v21                              // 000000009E08: D1ED003E 0456AD16
	v_mov_b32_dpp v22, v87 quad_perm:[1,0,3,2] row_mask:0xf bank_mask:0xf// 000000009E10: 7E2C02FA FF00B157
	v_perm_b32 v63, v22, v87, v21                              // 000000009E18: D1ED003F 0456AF16
	v_mfma_f32_16x16x16_bf16 v[202:205], v[136:137], v[172:173], v[202:205]// 000000009E20: D3E100CA 072B5988
	ds_write_b32 v24, v60 offset:26624                         // 000000009E28: D81A6800 00003C18
	ds_write_b32 v24, v61 offset:27168                         // 000000009E30: D81A6A20 00003D18
	ds_write_b32 v24, v62 offset:28928                         // 000000009E38: D81A7100 00003E18
	ds_write_b32 v24, v63 offset:29472                         // 000000009E40: D81A7320 00003F18
	v_mfma_f32_16x16x16_bf16 v[206:209], v[138:139], v[172:173], v[206:209]// 000000009E48: D3E100CE 073B598A
	v_mfma_f32_16x16x16_bf16 v[210:213], v[132:133], v[174:175], v[210:213]// 000000009E50: D3E100D2 074B5D84
	ds_write_b32 v19, v100 offset:4352                         // 000000009E58: D81A1100 00006413
	ds_write_b32 v19, v101 offset:5408                         // 000000009E60: D81A1520 00006513
	v_mfma_f32_16x16x16_bf16 v[214:217], v[134:135], v[174:175], v[214:217]// 000000009E68: D3E100D6 075B5D86
	v_mfma_f32_16x16x16_bf16 v[218:221], v[136:137], v[174:175], v[218:221]// 000000009E70: D3E100DA 076B5D88
	ds_write_b32 v19, v102 offset:6528                         // 000000009E78: D81A1980 00006613
	ds_write_b32 v19, v103 offset:7584                         // 000000009E80: D81A1DA0 00006713
	v_mfma_f32_16x16x16_bf16 v[222:225], v[138:139], v[174:175], v[222:225]// 000000009E88: D3E100DE 077B5D8A
	s_nop 0                                                    // 000000009E90: BF800000
	s_nop 0                                                    // 000000009E94: BF800000
	s_nop 0                                                    // 000000009E98: BF800000
	s_barrier                                                  // 000000009E9C: BF8A0000
	v_mfma_f32_16x16x16_bf16 a[112:115], a[96:97], v[76:77], a[112:115]// 000000009EA0: D3E18070 0DC29960
	ds_read_b32 v140, v27 offset:35584                         // 000000009EA8: D86C8B00 8C00001B
	ds_read_b32 v144, v27 offset:35648                         // 000000009EB0: D86C8B40 9000001B
	ds_read_b32 v176, v27 offset:35840                         // 000000009EB8: D86C8C00 B000001B
	ds_read_b32 v177, v27 offset:35904                         // 000000009EC0: D86C8C40 B100001B
	v_mfma_f32_16x16x16_bf16 a[116:119], a[98:99], v[76:77], a[116:119]// 000000009EC8: D3E18074 0DD29962
	global_atomic_pk_add_bf16 v6, v156, s[32:33]               // 000000009ED0: DD488000 00209C06
	v_mfma_f32_16x16x16_bf16 a[120:123], a[100:101], v[76:77], a[120:123]// 000000009ED8: D3E18078 0DE29964
	s_waitcnt lgkmcnt(8)                                       // 000000009EE0: BF8CC87F
	s_barrier                                                  // 000000009EE4: BF8A0000
	v_mfma_f32_16x16x16_bf16 a[124:127], a[102:103], v[76:77], a[124:127]// 000000009EE8: D3E1807C 0DF29966
	v_mfma_f32_16x16x16_bf16 a[128:131], a[96:97], v[78:79], a[128:131]// 000000009EF0: D3E18080 0E029D60
	ds_read_b128 v[52:55], v23 offset:17408                    // 000000009EF8: D9FE4400 34000017
	v_mfma_f32_16x16x16_bf16 a[132:135], a[98:99], v[78:79], a[132:135]// 000000009F00: D3E18084 0E129D62
	v_mfma_f32_16x16x16_bf16 a[136:139], a[100:101], v[78:79], a[136:139]// 000000009F08: D3E18088 0E229D64
	ds_read_b128 v[56:59], v23 offset:18560                    // 000000009F10: D9FE4880 38000017
	v_mfma_f32_16x16x16_bf16 a[140:143], a[102:103], v[78:79], a[140:143]// 000000009F18: D3E1808C 0E329D66
	global_atomic_pk_add_bf16 v8, v157, s[32:33]               // 000000009F20: DD488000 00209D08
	v_mfma_f32_16x16x16_bf16 a[144:147], a[96:97], v[80:81], a[144:147]// 000000009F28: D3E18090 0E42A160
	ds_read_b128 v[60:63], v23 offset:19712                    // 000000009F30: D9FE4D00 3C000017
	v_mfma_f32_16x16x16_bf16 a[148:151], a[98:99], v[80:81], a[148:151]// 000000009F38: D3E18094 0E52A162
	v_mfma_f32_16x16x16_bf16 a[152:155], a[100:101], v[80:81], a[152:155]// 000000009F40: D3E18098 0E62A164
	ds_read_b128 v[64:67], v23 offset:20864                    // 000000009F48: D9FE5180 40000017
	v_mfma_f32_16x16x16_bf16 a[156:159], a[102:103], v[80:81], a[156:159]// 000000009F50: D3E1809C 0E72A166
	v_mfma_f32_16x16x16_bf16 a[112:115], a[104:105], v[82:83], a[112:115]// 000000009F58: D3E18070 0DC2A568
	ds_read_b128 v[68:71], v23 offset:22016                    // 000000009F60: D9FE5600 44000017
	v_mfma_f32_16x16x16_bf16 a[116:119], a[106:107], v[82:83], a[116:119]// 000000009F68: D3E18074 0DD2A56A
	global_atomic_pk_add_bf16 v10, v158, s[32:33]              // 000000009F70: DD488000 00209E0A
	v_mfma_f32_16x16x16_bf16 a[120:123], a[108:109], v[82:83], a[120:123]// 000000009F78: D3E18078 0DE2A56C
	ds_read_b128 v[72:75], v23 offset:23168                    // 000000009F80: D9FE5A80 48000017
	v_mfma_f32_16x16x16_bf16 a[124:127], a[110:111], v[82:83], a[124:127]// 000000009F88: D3E1807C 0DF2A56E
	v_mfma_f32_16x16x16_bf16 a[128:131], a[104:105], v[84:85], a[128:131]// 000000009F90: D3E18080 0E02A968
	ds_write_b32 v19, v104 offset:13056                        // 000000009F98: D81A3300 00006813
	v_mfma_f32_16x16x16_bf16 a[132:135], a[106:107], v[84:85], a[132:135]// 000000009FA0: D3E18084 0E12A96A
	v_mfma_f32_16x16x16_bf16 a[136:139], a[108:109], v[84:85], a[136:139]// 000000009FA8: D3E18088 0E22A96C
	ds_write_b32 v19, v105 offset:14112                        // 000000009FB0: D81A3720 00006913
	v_mfma_f32_16x16x16_bf16 a[140:143], a[110:111], v[84:85], a[140:143]// 000000009FB8: D3E1808C 0E32A96E
	global_atomic_pk_add_bf16 v12, v159, s[32:33]              // 000000009FC0: DD488000 00209F0C
	v_mfma_f32_16x16x16_bf16 a[144:147], a[104:105], v[86:87], a[144:147]// 000000009FC8: D3E18090 0E42AD68
	ds_write_b32 v19, v106 offset:15232                        // 000000009FD0: D81A3B80 00006A13
	v_mfma_f32_16x16x16_bf16 a[148:151], a[106:107], v[86:87], a[148:151]// 000000009FD8: D3E18094 0E52AD6A
	v_mfma_f32_16x16x16_bf16 a[152:155], a[108:109], v[86:87], a[152:155]// 000000009FE0: D3E18098 0E62AD6C
	ds_write_b32 v19, v107 offset:16288                        // 000000009FE8: D81A3FA0 00006B13
	v_mfma_f32_16x16x16_bf16 a[156:159], a[110:111], v[86:87], a[156:159]// 000000009FF0: D3E1809C 0E72AD6E
	s_waitcnt vmcnt(4) lgkmcnt(4)                              // 000000009FF8: BF8C0474
	s_barrier                                                  // 000000009FFC: BF8A0000
	v_mfma_f32_16x16x16_bf16 v[148:151], a[24:25], v[52:53], 0 // 00000000A000: D3E10094 0A026918
	ds_read_b128 a[96:99], v16                                 // 00000000A008: DBFE0000 60000010
	buffer_load_dword v36, v1, s[8:11], 0 idxen                // 00000000A010: E0502000 80022401
	v_mfma_f32_16x16x16_bf16 v[148:151], a[28:29], v[54:55], v[148:151]// 00000000A018: D3E10094 0E526D1C
	v_mul_f32_e32 v140, s49, v140                              // 00000000A020: 0B191831
	v_mul_f32_e32 v144, s49, v144                              // 00000000A024: 0B212031
	s_nop 0                                                    // 00000000A028: BF800000
	v_mfma_f32_16x16x16_bf16 v[148:151], a[32:33], v[56:57], v[148:151]// 00000000A02C: D3E10094 0E527120
	ds_read_b128 a[100:103], v16 offset:512                    // 00000000A034: DBFE0200 64000010
	buffer_load_dword v37, v2, s[8:11], 0 idxen                // 00000000A03C: E0502000 80022502
	v_mfma_f32_16x16x16_bf16 v[148:151], a[36:37], v[58:59], v[148:151]// 00000000A044: D3E10094 0E527524
	v_mfma_f32_16x16x16_bf16 v[148:151], a[40:41], v[60:61], v[148:151]// 00000000A04C: D3E10094 0E527928
	ds_read_b128 a[104:107], v16 offset:2176                   // 00000000A054: DBFE0880 68000010
	buffer_load_dword v38, v3, s[8:11], 0 idxen                // 00000000A05C: E0502000 80022603
	v_mfma_f32_16x16x16_bf16 v[148:151], a[44:45], v[62:63], v[148:151]// 00000000A064: D3E10094 0E527D2C
	v_perm_b32 v100, v41, v40, s63                             // 00000000A06C: D1ED0064 00FE5129
	v_perm_b32 v101, v41, v40, s64                             // 00000000A074: D1ED0065 01025129
	v_mfma_f32_16x16x16_bf16 v[148:151], a[48:49], v[64:65], v[148:151]// 00000000A07C: D3E10094 0E528130
	ds_read_b128 a[108:111], v16 offset:2688                   // 00000000A084: DBFE0A80 6C000010
	buffer_load_dword v39, v4, s[8:11], 0 idxen                // 00000000A08C: E0502000 80022704
	v_mfma_f32_16x16x16_bf16 v[148:151], a[52:53], v[66:67], v[148:151]// 00000000A094: D3E10094 0E528534
	v_perm_b32 v102, v43, v42, s63                             // 00000000A09C: D1ED0066 00FE552B
	v_perm_b32 v103, v43, v42, s64                             // 00000000A0A4: D1ED0067 0102552B
	v_mfma_f32_16x16x16_bf16 v[148:151], a[56:57], v[68:69], v[148:151]// 00000000A0AC: D3E10094 0E528938
	ds_read_b128 v[108:111], v16 offset:8704                   // 00000000A0B4: D9FE2200 6C000010
	buffer_load_dword v44, v1, s[20:23], 0 idxen               // 00000000A0BC: E0502000 80052C01
	v_mfma_f32_16x16x16_bf16 v[148:151], a[60:61], v[70:71], v[148:151]// 00000000A0C4: D3E10094 0E528D3C
	v_perm_b32 v104, v49, v48, s63                             // 00000000A0CC: D1ED0068 00FE6131
	v_perm_b32 v105, v49, v48, s64                             // 00000000A0D4: D1ED0069 01026131
	v_mfma_f32_16x16x16_bf16 v[148:151], a[64:65], v[72:73], v[148:151]// 00000000A0DC: D3E10094 0E529140
	ds_read_b128 v[112:115], v16 offset:9216                   // 00000000A0E4: D9FE2400 70000010
	buffer_load_dword v45, v2, s[20:23], 0 idxen               // 00000000A0EC: E0502000 80052D02
	v_mfma_f32_16x16x16_bf16 v[148:151], a[68:69], v[74:75], v[148:151]// 00000000A0F4: D3E10094 0E529544
	v_perm_b32 v106, v51, v50, s63                             // 00000000A0FC: D1ED006A 00FE6533
	v_perm_b32 v107, v51, v50, s64                             // 00000000A104: D1ED006B 01026533
	v_mfma_f32_16x16x16_bf16 v[152:155], a[26:27], v[52:53], 0 // 00000000A10C: D3E10098 0A02691A
	ds_read_b128 v[116:119], v16 offset:10880                  // 00000000A114: D9FE2A80 74000010
	buffer_load_dword v46, v3, s[20:23], 0 idxen               // 00000000A11C: E0502000 80052E03
	v_mfma_f32_16x16x16_bf16 v[152:155], a[30:31], v[54:55], v[152:155]// 00000000A124: D3E10098 0E626D1E
	v_mov_b32_dpp v143, v140 quad_perm:[3,3,3,3] row_mask:0xf bank_mask:0xf// 00000000A12C: 7F1E02FA FF00FF8C
	v_mov_b32_dpp v142, v140 quad_perm:[2,2,2,2] row_mask:0xf bank_mask:0xf// 00000000A134: 7F1C02FA FF00AA8C
	v_mov_b32_dpp v141, v140 quad_perm:[1,1,1,1] row_mask:0xf bank_mask:0xf// 00000000A13C: 7F1A02FA FF00558C
	v_mov_b32_dpp v140, v140 quad_perm:[0,0,0,0] row_mask:0xf bank_mask:0xf// 00000000A144: 7F1802FA FF00008C
	v_mfma_f32_16x16x16_bf16 v[152:155], a[34:35], v[56:57], v[152:155]// 00000000A14C: D3E10098 0E627122
	ds_read_b128 v[120:123], v16 offset:11392                  // 00000000A154: D9FE2C80 78000010
	buffer_load_dword v47, v4, s[20:23], 0 idxen               // 00000000A15C: E0502000 80052F04
	v_mfma_f32_16x16x16_bf16 v[152:155], a[38:39], v[58:59], v[152:155]// 00000000A164: D3E10098 0E627526
	v_mov_b32_dpp v147, v144 quad_perm:[3,3,3,3] row_mask:0xf bank_mask:0xf// 00000000A16C: 7F2602FA FF00FF90
	v_mov_b32_dpp v146, v144 quad_perm:[2,2,2,2] row_mask:0xf bank_mask:0xf// 00000000A174: 7F2402FA FF00AA90
	v_mov_b32_dpp v145, v144 quad_perm:[1,1,1,1] row_mask:0xf bank_mask:0xf// 00000000A17C: 7F2202FA FF005590
	v_mov_b32_dpp v144, v144 quad_perm:[0,0,0,0] row_mask:0xf bank_mask:0xf// 00000000A184: 7F2002FA FF000090
	s_add_u32 s60, 0x80, s59                                   // 00000000A18C: 803C3BFF 00000080
	v_mfma_f32_16x16x16_bf16 v[152:155], a[42:43], v[60:61], v[152:155]// 00000000A194: D3E10098 0E62792A
	buffer_load_dword v15, s[24:27], 0 idxen lds               // 00000000A19C: E0512000 8006000F
	v_mfma_f32_16x16x16_bf16 v[152:155], a[46:47], v[62:63], v[152:155]// 00000000A1A4: D3E10098 0E627D2E
	s_cmp_lt_u32 s60, s58                                      // 00000000A1AC: BF0A3A3C
	s_cselect_b32 s68, s68, 0                                  // 00000000A1B0: 85448044
	s_cselect_b32 s69, s69, 0                                  // 00000000A1B4: 85458045
	v_mfma_f32_16x16x16_bf16 v[152:155], a[50:51], v[64:65], v[152:155]// 00000000A1B8: D3E10098 0E628132
	s_add_u32 s8, s68, s8                                      // 00000000A1C0: 80080844
	s_addc_u32 s9, 0, s9                                       // 00000000A1C4: 82090980
	v_mfma_f32_16x16x16_bf16 v[152:155], a[54:55], v[66:67], v[152:155]// 00000000A1C8: D3E10098 0E628536
	s_add_u32 s20, s68, s20                                    // 00000000A1D0: 80141444
	s_addc_u32 s21, 0, s21                                     // 00000000A1D4: 82151580
	v_mfma_f32_16x16x16_bf16 v[152:155], a[58:59], v[68:69], v[152:155]// 00000000A1D8: D3E10098 0E62893A
	s_mov_b32 m0, s77                                          // 00000000A1E0: BEFC004D
	v_add_u32_e32 v15, s69, v15                                // 00000000A1E4: 681E1E45
	v_mfma_f32_16x16x16_bf16 v[152:155], a[62:63], v[70:71], v[152:155]// 00000000A1E8: D3E10098 0E628D3E
	s_cmp_ge_u32 s59, 32                                       // 00000000A1F0: BF09A03B
	s_cselect_b32 s66, s67, s66                                // 00000000A1F4: 85424243
	v_mfma_f32_16x16x16_bf16 v[152:155], a[66:67], v[72:73], v[152:155]// 00000000A1F8: D3E10098 0E629142
	s_addk_i32 s59, 0x20                                       // 00000000A200: B73B0020
	s_nop 0                                                    // 00000000A204: BF800000
	s_cmp_lt_i32 s59, s58                                      // 00000000A208: BF043A3B
	v_mfma_f32_16x16x16_bf16 v[152:155], a[70:71], v[74:75], v[152:155]// 00000000A20C: D3E10098 0E629546
	s_cbranch_scc0 label_0F0D                                  // 00000000A214: BF84F687
	s_branch label_0F10                                        // 00000000A218: BF82F689

000000000000a21c <label_1887>:
	s_add_u32 s32, s66, s32                                    // 00000000A21C: 80202042
	s_addc_u32 s33, 0, s33                                     // 00000000A220: 82212180
	v_lshrrev_b32_e32 v32, 5, v0                               // 00000000A224: 20400085
	v_mul_i32_i24_e32 v31, 0x44, v32                           // 00000000A228: 0C3E40FF 00000044
	v_and_b32_e32 v32, 31, v0                                  // 00000000A230: 2640009F
	v_mul_i32_i24_e32 v33, 2, v32                              // 00000000A234: 0C424082
	v_add_u32_e32 v31, v33, v31                                // 00000000A238: 683E3F21
	s_mul_i32 s60, s47, 0x220                                  // 00000000A23C: 923CFF2F 00000220
	v_add_u32_e32 v31, s60, v31                                // 00000000A244: 683E3E3C
	v_lshlrev_b32_e32 v31, 2, v31                              // 00000000A248: 243E3E82
	v_mul_f32_e32 v148, s48, v148                              // 00000000A24C: 0B292830
	v_mul_f32_e32 v149, s48, v149                              // 00000000A250: 0B2B2A30
	v_mul_f32_e32 v150, s48, v150                              // 00000000A254: 0B2D2C30
	v_mul_f32_e32 v151, s48, v151                              // 00000000A258: 0B2F2E30
	v_mul_f32_e32 v152, s48, v152                              // 00000000A25C: 0B313030
	v_mul_f32_e32 v153, s48, v153                              // 00000000A260: 0B333230
	v_mul_f32_e32 v154, s48, v154                              // 00000000A264: 0B353430
	v_mul_f32_e32 v155, s48, v155                              // 00000000A268: 0B373630
	v_cmp_u_f32_e64 s[74:75], v148, v148                       // 00000000A26C: D048004A 00032994
	v_bfe_u32 v226, v148, 16, 1                                // 00000000A274: D1C800E2 02052194
	v_add3_u32 v226, v148, v226, v229                          // 00000000A27C: D1FF00E2 0797C594
	v_cndmask_b32_e64 v32, v226, v228, s[74:75]                // 00000000A284: D1000020 012BC9E2
	v_lshrrev_b32_e32 v32, 16, v32                             // 00000000A28C: 20404090
	v_cmp_u_f32_e64 s[74:75], v149, v149                       // 00000000A290: D048004A 00032B95
	v_bfe_u32 v226, v149, 16, 1                                // 00000000A298: D1C800E2 02052195
	v_add3_u32 v226, v149, v226, v229                          // 00000000A2A0: D1FF00E2 0797C595
	v_cndmask_b32_e64 v33, v226, v228, s[74:75]                // 00000000A2A8: D1000021 012BC9E2
	v_and_or_b32 v148, v33, v227, v32                          // 00000000A2B0: D2010094 0483C721
	v_cmp_u_f32_e64 s[74:75], v150, v150                       // 00000000A2B8: D048004A 00032D96
	v_bfe_u32 v226, v150, 16, 1                                // 00000000A2C0: D1C800E2 02052196
	v_add3_u32 v226, v150, v226, v229                          // 00000000A2C8: D1FF00E2 0797C596
	v_cndmask_b32_e64 v32, v226, v228, s[74:75]                // 00000000A2D0: D1000020 012BC9E2
	v_lshrrev_b32_e32 v32, 16, v32                             // 00000000A2D8: 20404090
	v_cmp_u_f32_e64 s[74:75], v151, v151                       // 00000000A2DC: D048004A 00032F97
	v_bfe_u32 v226, v151, 16, 1                                // 00000000A2E4: D1C800E2 02052197
	v_add3_u32 v226, v151, v226, v229                          // 00000000A2EC: D1FF00E2 0797C597
	v_cndmask_b32_e64 v33, v226, v228, s[74:75]                // 00000000A2F4: D1000021 012BC9E2
	v_and_or_b32 v149, v33, v227, v32                          // 00000000A2FC: D2010095 0483C721
	v_cmp_u_f32_e64 s[74:75], v152, v152                       // 00000000A304: D048004A 00033198
	v_bfe_u32 v226, v152, 16, 1                                // 00000000A30C: D1C800E2 02052198
	v_add3_u32 v226, v152, v226, v229                          // 00000000A314: D1FF00E2 0797C598
	v_cndmask_b32_e64 v32, v226, v228, s[74:75]                // 00000000A31C: D1000020 012BC9E2
	v_lshrrev_b32_e32 v32, 16, v32                             // 00000000A324: 20404090
	v_cmp_u_f32_e64 s[74:75], v153, v153                       // 00000000A328: D048004A 00033399
	v_bfe_u32 v226, v153, 16, 1                                // 00000000A330: D1C800E2 02052199
	v_add3_u32 v226, v153, v226, v229                          // 00000000A338: D1FF00E2 0797C599
	v_cndmask_b32_e64 v33, v226, v228, s[74:75]                // 00000000A340: D1000021 012BC9E2
	v_and_or_b32 v150, v33, v227, v32                          // 00000000A348: D2010096 0483C721
	v_cmp_u_f32_e64 s[74:75], v154, v154                       // 00000000A350: D048004A 0003359A
	v_bfe_u32 v226, v154, 16, 1                                // 00000000A358: D1C800E2 0205219A
	v_add3_u32 v226, v154, v226, v229                          // 00000000A360: D1FF00E2 0797C59A
	v_cndmask_b32_e64 v32, v226, v228, s[74:75]                // 00000000A368: D1000020 012BC9E2
	v_lshrrev_b32_e32 v32, 16, v32                             // 00000000A370: 20404090
	v_cmp_u_f32_e64 s[74:75], v155, v155                       // 00000000A374: D048004A 0003379B
	v_bfe_u32 v226, v155, 16, 1                                // 00000000A37C: D1C800E2 0205219B
	v_add3_u32 v226, v155, v226, v229                          // 00000000A384: D1FF00E2 0797C59B
	v_cndmask_b32_e64 v33, v226, v228, s[74:75]                // 00000000A38C: D1000021 012BC9E2
	v_and_or_b32 v151, v33, v227, v32                          // 00000000A394: D2010097 0483C721
	ds_write_b64 v26, v[148:149] offset:31232                  // 00000000A39C: D89A7A00 0000941A
	ds_write_b64 v26, v[150:151] offset:31776                  // 00000000A3A4: D89A7C20 0000961A
	s_waitcnt lgkmcnt(0)                                       // 00000000A3AC: BF8CC07F
	s_barrier                                                  // 00000000A3B0: BF8A0000
	ds_read_b32 v156, v25 offset:31232                         // 00000000A3B4: D86C7A00 9C000019
	ds_read_b32 v157, v25 offset:31248                         // 00000000A3BC: D86C7A10 9D000019
	ds_read_b32 v158, v25 offset:31264                         // 00000000A3C4: D86C7A20 9E000019
	ds_read_b32 v159, v25 offset:31280                         // 00000000A3CC: D86C7A30 9F000019
	s_waitcnt lgkmcnt(0)                                       // 00000000A3D4: BF8CC07F
	s_barrier                                                  // 00000000A3D8: BF8A0000
	global_atomic_pk_add_bf16 v6, v156, s[32:33]               // 00000000A3DC: DD488000 00209C06
	global_atomic_pk_add_bf16 v8, v157, s[32:33]               // 00000000A3E4: DD488000 00209D08
	global_atomic_pk_add_bf16 v10, v158, s[32:33]              // 00000000A3EC: DD488000 00209E0A
	global_atomic_pk_add_bf16 v12, v159, s[32:33]              // 00000000A3F4: DD488000 00209F0C
	v_lshrrev_b32_e32 v32, 3, v0                               // 00000000A3FC: 20400083
	v_mul_i32_i24_e32 v30, 2, v32                              // 00000000A400: 0C3C4082
	v_and_b32_e32 v32, 7, v0                                   // 00000000A404: 26400087
	v_mul_i32_i24_e32 v33, 0x44, v32                           // 00000000A408: 0C4240FF 00000044
	v_add_u32_e32 v30, v33, v30                                // 00000000A410: 683C3D21
	s_mul_i32 s60, s47, 0x220                                  // 00000000A414: 923CFF2F 00000220
	v_add_u32_e32 v30, s60, v30                                // 00000000A41C: 683C3C3C
	v_lshlrev_b32_e32 v30, 2, v30                              // 00000000A420: 243C3C82
	v_accvgpr_read_b32 v34, a112                               // 00000000A424: D3D84022 18000170
	v_accvgpr_read_b32 v35, a113                               // 00000000A42C: D3D84023 18000171
	v_mul_f32_e32 v34, s48, v34                                // 00000000A434: 0A444430
	v_mul_f32_e32 v35, s48, v35                                // 00000000A438: 0A464630
	v_cmp_u_f32_e64 s[74:75], v34, v34                         // 00000000A43C: D048004A 00024522
	v_bfe_u32 v226, v34, 16, 1                                 // 00000000A444: D1C800E2 02052122
	v_add3_u32 v226, v34, v226, v229                           // 00000000A44C: D1FF00E2 0797C522
	v_cndmask_b32_e64 v32, v226, v228, s[74:75]                // 00000000A454: D1000020 012BC9E2
	v_lshrrev_b32_e32 v32, 16, v32                             // 00000000A45C: 20404090
	v_cmp_u_f32_e64 s[74:75], v35, v35                         // 00000000A460: D048004A 00024723
	v_bfe_u32 v226, v35, 16, 1                                 // 00000000A468: D1C800E2 02052123
	v_add3_u32 v226, v35, v226, v229                           // 00000000A470: D1FF00E2 0797C523
	v_cndmask_b32_e64 v33, v226, v228, s[74:75]                // 00000000A478: D1000021 012BC9E2
	v_and_or_b32 v52, v33, v227, v32                           // 00000000A480: D2010034 0483C721
	v_accvgpr_read_b32 v34, a114                               // 00000000A488: D3D84022 18000172
	v_accvgpr_read_b32 v35, a115                               // 00000000A490: D3D84023 18000173
	v_mul_f32_e32 v34, s48, v34                                // 00000000A498: 0A444430
	v_mul_f32_e32 v35, s48, v35                                // 00000000A49C: 0A464630
	v_cmp_u_f32_e64 s[74:75], v34, v34                         // 00000000A4A0: D048004A 00024522
	v_bfe_u32 v226, v34, 16, 1                                 // 00000000A4A8: D1C800E2 02052122
	v_add3_u32 v226, v34, v226, v229                           // 00000000A4B0: D1FF00E2 0797C522
	v_cndmask_b32_e64 v32, v226, v228, s[74:75]                // 00000000A4B8: D1000020 012BC9E2
	v_lshrrev_b32_e32 v32, 16, v32                             // 00000000A4C0: 20404090
	v_cmp_u_f32_e64 s[74:75], v35, v35                         // 00000000A4C4: D048004A 00024723
	v_bfe_u32 v226, v35, 16, 1                                 // 00000000A4CC: D1C800E2 02052123
	v_add3_u32 v226, v35, v226, v229                           // 00000000A4D4: D1FF00E2 0797C523
	v_cndmask_b32_e64 v33, v226, v228, s[74:75]                // 00000000A4DC: D1000021 012BC9E2
	v_and_or_b32 v53, v33, v227, v32                           // 00000000A4E4: D2010035 0483C721
	v_accvgpr_read_b32 v34, a116                               // 00000000A4EC: D3D84022 18000174
	v_accvgpr_read_b32 v35, a117                               // 00000000A4F4: D3D84023 18000175
	v_mul_f32_e32 v34, s48, v34                                // 00000000A4FC: 0A444430
	v_mul_f32_e32 v35, s48, v35                                // 00000000A500: 0A464630
	v_cmp_u_f32_e64 s[74:75], v34, v34                         // 00000000A504: D048004A 00024522
	v_bfe_u32 v226, v34, 16, 1                                 // 00000000A50C: D1C800E2 02052122
	v_add3_u32 v226, v34, v226, v229                           // 00000000A514: D1FF00E2 0797C522
	v_cndmask_b32_e64 v32, v226, v228, s[74:75]                // 00000000A51C: D1000020 012BC9E2
	v_lshrrev_b32_e32 v32, 16, v32                             // 00000000A524: 20404090
	v_cmp_u_f32_e64 s[74:75], v35, v35                         // 00000000A528: D048004A 00024723
	v_bfe_u32 v226, v35, 16, 1                                 // 00000000A530: D1C800E2 02052123
	v_add3_u32 v226, v35, v226, v229                           // 00000000A538: D1FF00E2 0797C523
	v_cndmask_b32_e64 v33, v226, v228, s[74:75]                // 00000000A540: D1000021 012BC9E2
	v_and_or_b32 v54, v33, v227, v32                           // 00000000A548: D2010036 0483C721
	v_accvgpr_read_b32 v34, a118                               // 00000000A550: D3D84022 18000176
	v_accvgpr_read_b32 v35, a119                               // 00000000A558: D3D84023 18000177
	v_mul_f32_e32 v34, s48, v34                                // 00000000A560: 0A444430
	v_mul_f32_e32 v35, s48, v35                                // 00000000A564: 0A464630
	v_cmp_u_f32_e64 s[74:75], v34, v34                         // 00000000A568: D048004A 00024522
	v_bfe_u32 v226, v34, 16, 1                                 // 00000000A570: D1C800E2 02052122
	v_add3_u32 v226, v34, v226, v229                           // 00000000A578: D1FF00E2 0797C522
	v_cndmask_b32_e64 v32, v226, v228, s[74:75]                // 00000000A580: D1000020 012BC9E2
	v_lshrrev_b32_e32 v32, 16, v32                             // 00000000A588: 20404090
	v_cmp_u_f32_e64 s[74:75], v35, v35                         // 00000000A58C: D048004A 00024723
	v_bfe_u32 v226, v35, 16, 1                                 // 00000000A594: D1C800E2 02052123
	v_add3_u32 v226, v35, v226, v229                           // 00000000A59C: D1FF00E2 0797C523
	v_cndmask_b32_e64 v33, v226, v228, s[74:75]                // 00000000A5A4: D1000021 012BC9E2
	v_and_or_b32 v55, v33, v227, v32                           // 00000000A5AC: D2010037 0483C721
	v_accvgpr_read_b32 v34, a120                               // 00000000A5B4: D3D84022 18000178
	v_accvgpr_read_b32 v35, a121                               // 00000000A5BC: D3D84023 18000179
	v_mul_f32_e32 v34, s48, v34                                // 00000000A5C4: 0A444430
	v_mul_f32_e32 v35, s48, v35                                // 00000000A5C8: 0A464630
	v_cmp_u_f32_e64 s[74:75], v34, v34                         // 00000000A5CC: D048004A 00024522
	v_bfe_u32 v226, v34, 16, 1                                 // 00000000A5D4: D1C800E2 02052122
	v_add3_u32 v226, v34, v226, v229                           // 00000000A5DC: D1FF00E2 0797C522
	v_cndmask_b32_e64 v32, v226, v228, s[74:75]                // 00000000A5E4: D1000020 012BC9E2
	v_lshrrev_b32_e32 v32, 16, v32                             // 00000000A5EC: 20404090
	v_cmp_u_f32_e64 s[74:75], v35, v35                         // 00000000A5F0: D048004A 00024723
	v_bfe_u32 v226, v35, 16, 1                                 // 00000000A5F8: D1C800E2 02052123
	v_add3_u32 v226, v35, v226, v229                           // 00000000A600: D1FF00E2 0797C523
	v_cndmask_b32_e64 v33, v226, v228, s[74:75]                // 00000000A608: D1000021 012BC9E2
	v_and_or_b32 v56, v33, v227, v32                           // 00000000A610: D2010038 0483C721
	v_accvgpr_read_b32 v34, a122                               // 00000000A618: D3D84022 1800017A
	v_accvgpr_read_b32 v35, a123                               // 00000000A620: D3D84023 1800017B
	v_mul_f32_e32 v34, s48, v34                                // 00000000A628: 0A444430
	v_mul_f32_e32 v35, s48, v35                                // 00000000A62C: 0A464630
	v_cmp_u_f32_e64 s[74:75], v34, v34                         // 00000000A630: D048004A 00024522
	v_bfe_u32 v226, v34, 16, 1                                 // 00000000A638: D1C800E2 02052122
	v_add3_u32 v226, v34, v226, v229                           // 00000000A640: D1FF00E2 0797C522
	v_cndmask_b32_e64 v32, v226, v228, s[74:75]                // 00000000A648: D1000020 012BC9E2
	v_lshrrev_b32_e32 v32, 16, v32                             // 00000000A650: 20404090
	v_cmp_u_f32_e64 s[74:75], v35, v35                         // 00000000A654: D048004A 00024723
	v_bfe_u32 v226, v35, 16, 1                                 // 00000000A65C: D1C800E2 02052123
	v_add3_u32 v226, v35, v226, v229                           // 00000000A664: D1FF00E2 0797C523
	v_cndmask_b32_e64 v33, v226, v228, s[74:75]                // 00000000A66C: D1000021 012BC9E2
	v_and_or_b32 v57, v33, v227, v32                           // 00000000A674: D2010039 0483C721
	v_accvgpr_read_b32 v34, a124                               // 00000000A67C: D3D84022 1800017C
	v_accvgpr_read_b32 v35, a125                               // 00000000A684: D3D84023 1800017D
	v_mul_f32_e32 v34, s48, v34                                // 00000000A68C: 0A444430
	v_mul_f32_e32 v35, s48, v35                                // 00000000A690: 0A464630
	v_cmp_u_f32_e64 s[74:75], v34, v34                         // 00000000A694: D048004A 00024522
	v_bfe_u32 v226, v34, 16, 1                                 // 00000000A69C: D1C800E2 02052122
	v_add3_u32 v226, v34, v226, v229                           // 00000000A6A4: D1FF00E2 0797C522
	v_cndmask_b32_e64 v32, v226, v228, s[74:75]                // 00000000A6AC: D1000020 012BC9E2
	v_lshrrev_b32_e32 v32, 16, v32                             // 00000000A6B4: 20404090
	v_cmp_u_f32_e64 s[74:75], v35, v35                         // 00000000A6B8: D048004A 00024723
	v_bfe_u32 v226, v35, 16, 1                                 // 00000000A6C0: D1C800E2 02052123
	v_add3_u32 v226, v35, v226, v229                           // 00000000A6C8: D1FF00E2 0797C523
	v_cndmask_b32_e64 v33, v226, v228, s[74:75]                // 00000000A6D0: D1000021 012BC9E2
	v_and_or_b32 v58, v33, v227, v32                           // 00000000A6D8: D201003A 0483C721
	v_accvgpr_read_b32 v34, a126                               // 00000000A6E0: D3D84022 1800017E
	v_accvgpr_read_b32 v35, a127                               // 00000000A6E8: D3D84023 1800017F
	v_mul_f32_e32 v34, s48, v34                                // 00000000A6F0: 0A444430
	v_mul_f32_e32 v35, s48, v35                                // 00000000A6F4: 0A464630
	v_cmp_u_f32_e64 s[74:75], v34, v34                         // 00000000A6F8: D048004A 00024522
	v_bfe_u32 v226, v34, 16, 1                                 // 00000000A700: D1C800E2 02052122
	v_add3_u32 v226, v34, v226, v229                           // 00000000A708: D1FF00E2 0797C522
	v_cndmask_b32_e64 v32, v226, v228, s[74:75]                // 00000000A710: D1000020 012BC9E2
	v_lshrrev_b32_e32 v32, 16, v32                             // 00000000A718: 20404090
	v_cmp_u_f32_e64 s[74:75], v35, v35                         // 00000000A71C: D048004A 00024723
	v_bfe_u32 v226, v35, 16, 1                                 // 00000000A724: D1C800E2 02052123
	v_add3_u32 v226, v35, v226, v229                           // 00000000A72C: D1FF00E2 0797C523
	v_cndmask_b32_e64 v33, v226, v228, s[74:75]                // 00000000A734: D1000021 012BC9E2
	v_and_or_b32 v59, v33, v227, v32                           // 00000000A73C: D201003B 0483C721
	ds_write_b64 v31, v[52:53]                                 // 00000000A744: D89A0000 0000341F
	ds_write_b64 v31, v[54:55] offset:544                      // 00000000A74C: D89A0220 0000361F
	ds_write_b64 v31, v[56:57] offset:1088                     // 00000000A754: D89A0440 0000381F
	ds_write_b64 v31, v[58:59] offset:1632                     // 00000000A75C: D89A0660 00003A1F
	s_waitcnt lgkmcnt(0)                                       // 00000000A764: BF8CC07F
	s_barrier                                                  // 00000000A768: BF8A0000
	ds_read_b64 v[52:53], v30                                  // 00000000A76C: D8EC0000 3400001E
	ds_read_b64 v[54:55], v30 offset:128                       // 00000000A774: D8EC0080 3600001E
	ds_read_b64 v[56:57], v30 offset:64                        // 00000000A77C: D8EC0040 3800001E
	ds_read_b64 v[58:59], v30 offset:192                       // 00000000A784: D8EC00C0 3A00001E
	s_waitcnt lgkmcnt(0)                                       // 00000000A78C: BF8CC07F
	buffer_store_dwordx4 v[52:55], v5, s[36:39], 0 idxen       // 00000000A790: E07C2000 80093405
	s_mul_i32 s60, 2, s46                                      // 00000000A798: 923C2E82
	v_add_u32_e32 v5, s60, v5                                  // 00000000A79C: 680A0A3C
	buffer_store_dwordx4 v[56:59], v5, s[36:39], 0 idxen       // 00000000A7A0: E07C2000 80093805
	s_mul_i32 s60, 2, s46                                      // 00000000A7A8: 923C2E82
	v_add_u32_e32 v5, s60, v5                                  // 00000000A7AC: 680A0A3C
	s_mul_i32 s60, 12, s46                                     // 00000000A7B0: 923C2E8C
	v_add_u32_e32 v5, s60, v5                                  // 00000000A7B4: 680A0A3C
	s_barrier                                                  // 00000000A7B8: BF8A0000
	s_cmp_ge_i32 1, s73                                        // 00000000A7BC: BF034981
	s_cbranch_scc1 label_1BC1                                  // 00000000A7C0: BF8501D0
	v_accvgpr_read_b32 v34, a128                               // 00000000A7C4: D3D84022 18000180
	v_accvgpr_read_b32 v35, a129                               // 00000000A7CC: D3D84023 18000181
	v_mul_f32_e32 v34, s48, v34                                // 00000000A7D4: 0A444430
	v_mul_f32_e32 v35, s48, v35                                // 00000000A7D8: 0A464630
	v_cmp_u_f32_e64 s[74:75], v34, v34                         // 00000000A7DC: D048004A 00024522
	v_bfe_u32 v226, v34, 16, 1                                 // 00000000A7E4: D1C800E2 02052122
	v_add3_u32 v226, v34, v226, v229                           // 00000000A7EC: D1FF00E2 0797C522
	v_cndmask_b32_e64 v32, v226, v228, s[74:75]                // 00000000A7F4: D1000020 012BC9E2
	v_lshrrev_b32_e32 v32, 16, v32                             // 00000000A7FC: 20404090
	v_cmp_u_f32_e64 s[74:75], v35, v35                         // 00000000A800: D048004A 00024723
	v_bfe_u32 v226, v35, 16, 1                                 // 00000000A808: D1C800E2 02052123
	v_add3_u32 v226, v35, v226, v229                           // 00000000A810: D1FF00E2 0797C523
	v_cndmask_b32_e64 v33, v226, v228, s[74:75]                // 00000000A818: D1000021 012BC9E2
	v_and_or_b32 v60, v33, v227, v32                           // 00000000A820: D201003C 0483C721
	v_accvgpr_read_b32 v34, a130                               // 00000000A828: D3D84022 18000182
	v_accvgpr_read_b32 v35, a131                               // 00000000A830: D3D84023 18000183
	v_mul_f32_e32 v34, s48, v34                                // 00000000A838: 0A444430
	v_mul_f32_e32 v35, s48, v35                                // 00000000A83C: 0A464630
	v_cmp_u_f32_e64 s[74:75], v34, v34                         // 00000000A840: D048004A 00024522
	v_bfe_u32 v226, v34, 16, 1                                 // 00000000A848: D1C800E2 02052122
	v_add3_u32 v226, v34, v226, v229                           // 00000000A850: D1FF00E2 0797C522
	v_cndmask_b32_e64 v32, v226, v228, s[74:75]                // 00000000A858: D1000020 012BC9E2
	v_lshrrev_b32_e32 v32, 16, v32                             // 00000000A860: 20404090
	v_cmp_u_f32_e64 s[74:75], v35, v35                         // 00000000A864: D048004A 00024723
	v_bfe_u32 v226, v35, 16, 1                                 // 00000000A86C: D1C800E2 02052123
	v_add3_u32 v226, v35, v226, v229                           // 00000000A874: D1FF00E2 0797C523
	v_cndmask_b32_e64 v33, v226, v228, s[74:75]                // 00000000A87C: D1000021 012BC9E2
	v_and_or_b32 v61, v33, v227, v32                           // 00000000A884: D201003D 0483C721
	v_accvgpr_read_b32 v34, a132                               // 00000000A88C: D3D84022 18000184
	v_accvgpr_read_b32 v35, a133                               // 00000000A894: D3D84023 18000185
	v_mul_f32_e32 v34, s48, v34                                // 00000000A89C: 0A444430
	v_mul_f32_e32 v35, s48, v35                                // 00000000A8A0: 0A464630
	v_cmp_u_f32_e64 s[74:75], v34, v34                         // 00000000A8A4: D048004A 00024522
	v_bfe_u32 v226, v34, 16, 1                                 // 00000000A8AC: D1C800E2 02052122
	v_add3_u32 v226, v34, v226, v229                           // 00000000A8B4: D1FF00E2 0797C522
	v_cndmask_b32_e64 v32, v226, v228, s[74:75]                // 00000000A8BC: D1000020 012BC9E2
	v_lshrrev_b32_e32 v32, 16, v32                             // 00000000A8C4: 20404090
	v_cmp_u_f32_e64 s[74:75], v35, v35                         // 00000000A8C8: D048004A 00024723
	v_bfe_u32 v226, v35, 16, 1                                 // 00000000A8D0: D1C800E2 02052123
	v_add3_u32 v226, v35, v226, v229                           // 00000000A8D8: D1FF00E2 0797C523
	v_cndmask_b32_e64 v33, v226, v228, s[74:75]                // 00000000A8E0: D1000021 012BC9E2
	v_and_or_b32 v62, v33, v227, v32                           // 00000000A8E8: D201003E 0483C721
	v_accvgpr_read_b32 v34, a134                               // 00000000A8F0: D3D84022 18000186
	v_accvgpr_read_b32 v35, a135                               // 00000000A8F8: D3D84023 18000187
	v_mul_f32_e32 v34, s48, v34                                // 00000000A900: 0A444430
	v_mul_f32_e32 v35, s48, v35                                // 00000000A904: 0A464630
	v_cmp_u_f32_e64 s[74:75], v34, v34                         // 00000000A908: D048004A 00024522
	v_bfe_u32 v226, v34, 16, 1                                 // 00000000A910: D1C800E2 02052122
	v_add3_u32 v226, v34, v226, v229                           // 00000000A918: D1FF00E2 0797C522
	v_cndmask_b32_e64 v32, v226, v228, s[74:75]                // 00000000A920: D1000020 012BC9E2
	v_lshrrev_b32_e32 v32, 16, v32                             // 00000000A928: 20404090
	v_cmp_u_f32_e64 s[74:75], v35, v35                         // 00000000A92C: D048004A 00024723
	v_bfe_u32 v226, v35, 16, 1                                 // 00000000A934: D1C800E2 02052123
	v_add3_u32 v226, v35, v226, v229                           // 00000000A93C: D1FF00E2 0797C523
	v_cndmask_b32_e64 v33, v226, v228, s[74:75]                // 00000000A944: D1000021 012BC9E2
	v_and_or_b32 v63, v33, v227, v32                           // 00000000A94C: D201003F 0483C721
	v_accvgpr_read_b32 v34, a136                               // 00000000A954: D3D84022 18000188
	v_accvgpr_read_b32 v35, a137                               // 00000000A95C: D3D84023 18000189
	v_mul_f32_e32 v34, s48, v34                                // 00000000A964: 0A444430
	v_mul_f32_e32 v35, s48, v35                                // 00000000A968: 0A464630
	v_cmp_u_f32_e64 s[74:75], v34, v34                         // 00000000A96C: D048004A 00024522
	v_bfe_u32 v226, v34, 16, 1                                 // 00000000A974: D1C800E2 02052122
	v_add3_u32 v226, v34, v226, v229                           // 00000000A97C: D1FF00E2 0797C522
	v_cndmask_b32_e64 v32, v226, v228, s[74:75]                // 00000000A984: D1000020 012BC9E2
	v_lshrrev_b32_e32 v32, 16, v32                             // 00000000A98C: 20404090
	v_cmp_u_f32_e64 s[74:75], v35, v35                         // 00000000A990: D048004A 00024723
	v_bfe_u32 v226, v35, 16, 1                                 // 00000000A998: D1C800E2 02052123
	v_add3_u32 v226, v35, v226, v229                           // 00000000A9A0: D1FF00E2 0797C523
	v_cndmask_b32_e64 v33, v226, v228, s[74:75]                // 00000000A9A8: D1000021 012BC9E2
	v_and_or_b32 v64, v33, v227, v32                           // 00000000A9B0: D2010040 0483C721
	v_accvgpr_read_b32 v34, a138                               // 00000000A9B8: D3D84022 1800018A
	v_accvgpr_read_b32 v35, a139                               // 00000000A9C0: D3D84023 1800018B
	v_mul_f32_e32 v34, s48, v34                                // 00000000A9C8: 0A444430
	v_mul_f32_e32 v35, s48, v35                                // 00000000A9CC: 0A464630
	v_cmp_u_f32_e64 s[74:75], v34, v34                         // 00000000A9D0: D048004A 00024522
	v_bfe_u32 v226, v34, 16, 1                                 // 00000000A9D8: D1C800E2 02052122
	v_add3_u32 v226, v34, v226, v229                           // 00000000A9E0: D1FF00E2 0797C522
	v_cndmask_b32_e64 v32, v226, v228, s[74:75]                // 00000000A9E8: D1000020 012BC9E2
	v_lshrrev_b32_e32 v32, 16, v32                             // 00000000A9F0: 20404090
	v_cmp_u_f32_e64 s[74:75], v35, v35                         // 00000000A9F4: D048004A 00024723
	v_bfe_u32 v226, v35, 16, 1                                 // 00000000A9FC: D1C800E2 02052123
	v_add3_u32 v226, v35, v226, v229                           // 00000000AA04: D1FF00E2 0797C523
	v_cndmask_b32_e64 v33, v226, v228, s[74:75]                // 00000000AA0C: D1000021 012BC9E2
	v_and_or_b32 v65, v33, v227, v32                           // 00000000AA14: D2010041 0483C721
	v_accvgpr_read_b32 v34, a140                               // 00000000AA1C: D3D84022 1800018C
	v_accvgpr_read_b32 v35, a141                               // 00000000AA24: D3D84023 1800018D
	v_mul_f32_e32 v34, s48, v34                                // 00000000AA2C: 0A444430
	v_mul_f32_e32 v35, s48, v35                                // 00000000AA30: 0A464630
	v_cmp_u_f32_e64 s[74:75], v34, v34                         // 00000000AA34: D048004A 00024522
	v_bfe_u32 v226, v34, 16, 1                                 // 00000000AA3C: D1C800E2 02052122
	v_add3_u32 v226, v34, v226, v229                           // 00000000AA44: D1FF00E2 0797C522
	v_cndmask_b32_e64 v32, v226, v228, s[74:75]                // 00000000AA4C: D1000020 012BC9E2
	v_lshrrev_b32_e32 v32, 16, v32                             // 00000000AA54: 20404090
	v_cmp_u_f32_e64 s[74:75], v35, v35                         // 00000000AA58: D048004A 00024723
	v_bfe_u32 v226, v35, 16, 1                                 // 00000000AA60: D1C800E2 02052123
	v_add3_u32 v226, v35, v226, v229                           // 00000000AA68: D1FF00E2 0797C523
	v_cndmask_b32_e64 v33, v226, v228, s[74:75]                // 00000000AA70: D1000021 012BC9E2
	v_and_or_b32 v66, v33, v227, v32                           // 00000000AA78: D2010042 0483C721
	v_accvgpr_read_b32 v34, a142                               // 00000000AA80: D3D84022 1800018E
	v_accvgpr_read_b32 v35, a143                               // 00000000AA88: D3D84023 1800018F
	v_mul_f32_e32 v34, s48, v34                                // 00000000AA90: 0A444430
	v_mul_f32_e32 v35, s48, v35                                // 00000000AA94: 0A464630
	v_cmp_u_f32_e64 s[74:75], v34, v34                         // 00000000AA98: D048004A 00024522
	v_bfe_u32 v226, v34, 16, 1                                 // 00000000AAA0: D1C800E2 02052122
	v_add3_u32 v226, v34, v226, v229                           // 00000000AAA8: D1FF00E2 0797C522
	v_cndmask_b32_e64 v32, v226, v228, s[74:75]                // 00000000AAB0: D1000020 012BC9E2
	v_lshrrev_b32_e32 v32, 16, v32                             // 00000000AAB8: 20404090
	v_cmp_u_f32_e64 s[74:75], v35, v35                         // 00000000AABC: D048004A 00024723
	v_bfe_u32 v226, v35, 16, 1                                 // 00000000AAC4: D1C800E2 02052123
	v_add3_u32 v226, v35, v226, v229                           // 00000000AACC: D1FF00E2 0797C523
	v_cndmask_b32_e64 v33, v226, v228, s[74:75]                // 00000000AAD4: D1000021 012BC9E2
	v_and_or_b32 v67, v33, v227, v32                           // 00000000AADC: D2010043 0483C721
	ds_write_b64 v31, v[60:61] offset:8704                     // 00000000AAE4: D89A2200 00003C1F
	ds_write_b64 v31, v[62:63] offset:9248                     // 00000000AAEC: D89A2420 00003E1F
	ds_write_b64 v31, v[64:65] offset:9792                     // 00000000AAF4: D89A2640 0000401F
	ds_write_b64 v31, v[66:67] offset:10336                    // 00000000AAFC: D89A2860 0000421F
	s_waitcnt lgkmcnt(0)                                       // 00000000AB04: BF8CC07F
	s_barrier                                                  // 00000000AB08: BF8A0000
	ds_read_b64 v[60:61], v30 offset:8704                      // 00000000AB0C: D8EC2200 3C00001E
	ds_read_b64 v[62:63], v30 offset:8832                      // 00000000AB14: D8EC2280 3E00001E
	ds_read_b64 v[64:65], v30 offset:8768                      // 00000000AB1C: D8EC2240 4000001E
	ds_read_b64 v[66:67], v30 offset:8896                      // 00000000AB24: D8EC22C0 4200001E
	s_waitcnt lgkmcnt(0)                                       // 00000000AB2C: BF8CC07F
	buffer_store_dwordx4 v[60:63], v5, s[36:39], 0 idxen       // 00000000AB30: E07C2000 80093C05
	s_mul_i32 s60, 2, s46                                      // 00000000AB38: 923C2E82
	v_add_u32_e32 v5, s60, v5                                  // 00000000AB3C: 680A0A3C
	buffer_store_dwordx4 v[64:67], v5, s[36:39], 0 idxen       // 00000000AB40: E07C2000 80094005
	s_mul_i32 s60, 2, s46                                      // 00000000AB48: 923C2E82
	v_add_u32_e32 v5, s60, v5                                  // 00000000AB4C: 680A0A3C
	s_mul_i32 s60, 12, s46                                     // 00000000AB50: 923C2E8C
	v_add_u32_e32 v5, s60, v5                                  // 00000000AB54: 680A0A3C
	s_barrier                                                  // 00000000AB58: BF8A0000
	s_cmp_ge_i32 2, s73                                        // 00000000AB5C: BF034982
	s_cbranch_scc1 label_1BC1                                  // 00000000AB60: BF8500E8
	v_accvgpr_read_b32 v34, a144                               // 00000000AB64: D3D84022 18000190
	v_accvgpr_read_b32 v35, a145                               // 00000000AB6C: D3D84023 18000191
	v_mul_f32_e32 v34, s48, v34                                // 00000000AB74: 0A444430
	v_mul_f32_e32 v35, s48, v35                                // 00000000AB78: 0A464630
	v_cmp_u_f32_e64 s[74:75], v34, v34                         // 00000000AB7C: D048004A 00024522
	v_bfe_u32 v226, v34, 16, 1                                 // 00000000AB84: D1C800E2 02052122
	v_add3_u32 v226, v34, v226, v229                           // 00000000AB8C: D1FF00E2 0797C522
	v_cndmask_b32_e64 v32, v226, v228, s[74:75]                // 00000000AB94: D1000020 012BC9E2
	v_lshrrev_b32_e32 v32, 16, v32                             // 00000000AB9C: 20404090
	v_cmp_u_f32_e64 s[74:75], v35, v35                         // 00000000ABA0: D048004A 00024723
	v_bfe_u32 v226, v35, 16, 1                                 // 00000000ABA8: D1C800E2 02052123
	v_add3_u32 v226, v35, v226, v229                           // 00000000ABB0: D1FF00E2 0797C523
	v_cndmask_b32_e64 v33, v226, v228, s[74:75]                // 00000000ABB8: D1000021 012BC9E2
	v_and_or_b32 v68, v33, v227, v32                           // 00000000ABC0: D2010044 0483C721
	v_accvgpr_read_b32 v34, a146                               // 00000000ABC8: D3D84022 18000192
	v_accvgpr_read_b32 v35, a147                               // 00000000ABD0: D3D84023 18000193
	v_mul_f32_e32 v34, s48, v34                                // 00000000ABD8: 0A444430
	v_mul_f32_e32 v35, s48, v35                                // 00000000ABDC: 0A464630
	v_cmp_u_f32_e64 s[74:75], v34, v34                         // 00000000ABE0: D048004A 00024522
	v_bfe_u32 v226, v34, 16, 1                                 // 00000000ABE8: D1C800E2 02052122
	v_add3_u32 v226, v34, v226, v229                           // 00000000ABF0: D1FF00E2 0797C522
	v_cndmask_b32_e64 v32, v226, v228, s[74:75]                // 00000000ABF8: D1000020 012BC9E2
	v_lshrrev_b32_e32 v32, 16, v32                             // 00000000AC00: 20404090
	v_cmp_u_f32_e64 s[74:75], v35, v35                         // 00000000AC04: D048004A 00024723
	v_bfe_u32 v226, v35, 16, 1                                 // 00000000AC0C: D1C800E2 02052123
	v_add3_u32 v226, v35, v226, v229                           // 00000000AC14: D1FF00E2 0797C523
	v_cndmask_b32_e64 v33, v226, v228, s[74:75]                // 00000000AC1C: D1000021 012BC9E2
	v_and_or_b32 v69, v33, v227, v32                           // 00000000AC24: D2010045 0483C721
	v_accvgpr_read_b32 v34, a148                               // 00000000AC2C: D3D84022 18000194
	v_accvgpr_read_b32 v35, a149                               // 00000000AC34: D3D84023 18000195
	v_mul_f32_e32 v34, s48, v34                                // 00000000AC3C: 0A444430
	v_mul_f32_e32 v35, s48, v35                                // 00000000AC40: 0A464630
	v_cmp_u_f32_e64 s[74:75], v34, v34                         // 00000000AC44: D048004A 00024522
	v_bfe_u32 v226, v34, 16, 1                                 // 00000000AC4C: D1C800E2 02052122
	v_add3_u32 v226, v34, v226, v229                           // 00000000AC54: D1FF00E2 0797C522
	v_cndmask_b32_e64 v32, v226, v228, s[74:75]                // 00000000AC5C: D1000020 012BC9E2
	v_lshrrev_b32_e32 v32, 16, v32                             // 00000000AC64: 20404090
	v_cmp_u_f32_e64 s[74:75], v35, v35                         // 00000000AC68: D048004A 00024723
	v_bfe_u32 v226, v35, 16, 1                                 // 00000000AC70: D1C800E2 02052123
	v_add3_u32 v226, v35, v226, v229                           // 00000000AC78: D1FF00E2 0797C523
	v_cndmask_b32_e64 v33, v226, v228, s[74:75]                // 00000000AC80: D1000021 012BC9E2
	v_and_or_b32 v70, v33, v227, v32                           // 00000000AC88: D2010046 0483C721
	v_accvgpr_read_b32 v34, a150                               // 00000000AC90: D3D84022 18000196
	v_accvgpr_read_b32 v35, a151                               // 00000000AC98: D3D84023 18000197
	v_mul_f32_e32 v34, s48, v34                                // 00000000ACA0: 0A444430
	v_mul_f32_e32 v35, s48, v35                                // 00000000ACA4: 0A464630
	v_cmp_u_f32_e64 s[74:75], v34, v34                         // 00000000ACA8: D048004A 00024522
	v_bfe_u32 v226, v34, 16, 1                                 // 00000000ACB0: D1C800E2 02052122
	v_add3_u32 v226, v34, v226, v229                           // 00000000ACB8: D1FF00E2 0797C522
	v_cndmask_b32_e64 v32, v226, v228, s[74:75]                // 00000000ACC0: D1000020 012BC9E2
	v_lshrrev_b32_e32 v32, 16, v32                             // 00000000ACC8: 20404090
	v_cmp_u_f32_e64 s[74:75], v35, v35                         // 00000000ACCC: D048004A 00024723
	v_bfe_u32 v226, v35, 16, 1                                 // 00000000ACD4: D1C800E2 02052123
	v_add3_u32 v226, v35, v226, v229                           // 00000000ACDC: D1FF00E2 0797C523
	v_cndmask_b32_e64 v33, v226, v228, s[74:75]                // 00000000ACE4: D1000021 012BC9E2
	v_and_or_b32 v71, v33, v227, v32                           // 00000000ACEC: D2010047 0483C721
	v_accvgpr_read_b32 v34, a152                               // 00000000ACF4: D3D84022 18000198
	v_accvgpr_read_b32 v35, a153                               // 00000000ACFC: D3D84023 18000199
	v_mul_f32_e32 v34, s48, v34                                // 00000000AD04: 0A444430
	v_mul_f32_e32 v35, s48, v35                                // 00000000AD08: 0A464630
	v_cmp_u_f32_e64 s[74:75], v34, v34                         // 00000000AD0C: D048004A 00024522
	v_bfe_u32 v226, v34, 16, 1                                 // 00000000AD14: D1C800E2 02052122
	v_add3_u32 v226, v34, v226, v229                           // 00000000AD1C: D1FF00E2 0797C522
	v_cndmask_b32_e64 v32, v226, v228, s[74:75]                // 00000000AD24: D1000020 012BC9E2
	v_lshrrev_b32_e32 v32, 16, v32                             // 00000000AD2C: 20404090
	v_cmp_u_f32_e64 s[74:75], v35, v35                         // 00000000AD30: D048004A 00024723
	v_bfe_u32 v226, v35, 16, 1                                 // 00000000AD38: D1C800E2 02052123
	v_add3_u32 v226, v35, v226, v229                           // 00000000AD40: D1FF00E2 0797C523
	v_cndmask_b32_e64 v33, v226, v228, s[74:75]                // 00000000AD48: D1000021 012BC9E2
	v_and_or_b32 v72, v33, v227, v32                           // 00000000AD50: D2010048 0483C721
	v_accvgpr_read_b32 v34, a154                               // 00000000AD58: D3D84022 1800019A
	v_accvgpr_read_b32 v35, a155                               // 00000000AD60: D3D84023 1800019B
	v_mul_f32_e32 v34, s48, v34                                // 00000000AD68: 0A444430
	v_mul_f32_e32 v35, s48, v35                                // 00000000AD6C: 0A464630
	v_cmp_u_f32_e64 s[74:75], v34, v34                         // 00000000AD70: D048004A 00024522
	v_bfe_u32 v226, v34, 16, 1                                 // 00000000AD78: D1C800E2 02052122
	v_add3_u32 v226, v34, v226, v229                           // 00000000AD80: D1FF00E2 0797C522
	v_cndmask_b32_e64 v32, v226, v228, s[74:75]                // 00000000AD88: D1000020 012BC9E2
	v_lshrrev_b32_e32 v32, 16, v32                             // 00000000AD90: 20404090
	v_cmp_u_f32_e64 s[74:75], v35, v35                         // 00000000AD94: D048004A 00024723
	v_bfe_u32 v226, v35, 16, 1                                 // 00000000AD9C: D1C800E2 02052123
	v_add3_u32 v226, v35, v226, v229                           // 00000000ADA4: D1FF00E2 0797C523
	v_cndmask_b32_e64 v33, v226, v228, s[74:75]                // 00000000ADAC: D1000021 012BC9E2
	v_and_or_b32 v73, v33, v227, v32                           // 00000000ADB4: D2010049 0483C721
	v_accvgpr_read_b32 v34, a156                               // 00000000ADBC: D3D84022 1800019C
	v_accvgpr_read_b32 v35, a157                               // 00000000ADC4: D3D84023 1800019D
	v_mul_f32_e32 v34, s48, v34                                // 00000000ADCC: 0A444430
	v_mul_f32_e32 v35, s48, v35                                // 00000000ADD0: 0A464630
	v_cmp_u_f32_e64 s[74:75], v34, v34                         // 00000000ADD4: D048004A 00024522
	v_bfe_u32 v226, v34, 16, 1                                 // 00000000ADDC: D1C800E2 02052122
	v_add3_u32 v226, v34, v226, v229                           // 00000000ADE4: D1FF00E2 0797C522
	v_cndmask_b32_e64 v32, v226, v228, s[74:75]                // 00000000ADEC: D1000020 012BC9E2
	v_lshrrev_b32_e32 v32, 16, v32                             // 00000000ADF4: 20404090
	v_cmp_u_f32_e64 s[74:75], v35, v35                         // 00000000ADF8: D048004A 00024723
	v_bfe_u32 v226, v35, 16, 1                                 // 00000000AE00: D1C800E2 02052123
	v_add3_u32 v226, v35, v226, v229                           // 00000000AE08: D1FF00E2 0797C523
	v_cndmask_b32_e64 v33, v226, v228, s[74:75]                // 00000000AE10: D1000021 012BC9E2
	v_and_or_b32 v74, v33, v227, v32                           // 00000000AE18: D201004A 0483C721
	v_accvgpr_read_b32 v34, a158                               // 00000000AE20: D3D84022 1800019E
	v_accvgpr_read_b32 v35, a159                               // 00000000AE28: D3D84023 1800019F
	v_mul_f32_e32 v34, s48, v34                                // 00000000AE30: 0A444430
	v_mul_f32_e32 v35, s48, v35                                // 00000000AE34: 0A464630
	v_cmp_u_f32_e64 s[74:75], v34, v34                         // 00000000AE38: D048004A 00024522
	v_bfe_u32 v226, v34, 16, 1                                 // 00000000AE40: D1C800E2 02052122
	v_add3_u32 v226, v34, v226, v229                           // 00000000AE48: D1FF00E2 0797C522
	v_cndmask_b32_e64 v32, v226, v228, s[74:75]                // 00000000AE50: D1000020 012BC9E2
	v_lshrrev_b32_e32 v32, 16, v32                             // 00000000AE58: 20404090
	v_cmp_u_f32_e64 s[74:75], v35, v35                         // 00000000AE5C: D048004A 00024723
	v_bfe_u32 v226, v35, 16, 1                                 // 00000000AE64: D1C800E2 02052123
	v_add3_u32 v226, v35, v226, v229                           // 00000000AE6C: D1FF00E2 0797C523
	v_cndmask_b32_e64 v33, v226, v228, s[74:75]                // 00000000AE74: D1000021 012BC9E2
	v_and_or_b32 v75, v33, v227, v32                           // 00000000AE7C: D201004B 0483C721
	ds_write_b64 v31, v[68:69] offset:17408                    // 00000000AE84: D89A4400 0000441F
	ds_write_b64 v31, v[70:71] offset:17952                    // 00000000AE8C: D89A4620 0000461F
	ds_write_b64 v31, v[72:73] offset:18496                    // 00000000AE94: D89A4840 0000481F
	ds_write_b64 v31, v[74:75] offset:19040                    // 00000000AE9C: D89A4A60 00004A1F
	s_waitcnt lgkmcnt(0)                                       // 00000000AEA4: BF8CC07F
	s_barrier                                                  // 00000000AEA8: BF8A0000
	ds_read_b64 v[68:69], v30 offset:17408                     // 00000000AEAC: D8EC4400 4400001E
	ds_read_b64 v[70:71], v30 offset:17536                     // 00000000AEB4: D8EC4480 4600001E
	ds_read_b64 v[72:73], v30 offset:17472                     // 00000000AEBC: D8EC4440 4800001E
	ds_read_b64 v[74:75], v30 offset:17600                     // 00000000AEC4: D8EC44C0 4A00001E
	s_waitcnt lgkmcnt(0)                                       // 00000000AECC: BF8CC07F
	buffer_store_dwordx4 v[68:71], v5, s[36:39], 0 idxen       // 00000000AED0: E07C2000 80094405
	s_mul_i32 s60, 2, s46                                      // 00000000AED8: 923C2E82
	v_add_u32_e32 v5, s60, v5                                  // 00000000AEDC: 680A0A3C
	buffer_store_dwordx4 v[72:75], v5, s[36:39], 0 idxen       // 00000000AEE0: E07C2000 80094805
	s_mul_i32 s60, 2, s46                                      // 00000000AEE8: 923C2E82
	v_add_u32_e32 v5, s60, v5                                  // 00000000AEEC: 680A0A3C
	s_mul_i32 s60, 12, s46                                     // 00000000AEF0: 923C2E8C
	v_add_u32_e32 v5, s60, v5                                  // 00000000AEF4: 680A0A3C
	s_barrier                                                  // 00000000AEF8: BF8A0000
	s_cmp_ge_i32 3, s73                                        // 00000000AEFC: BF034983
	s_cbranch_scc1 label_1BC1                                  // 00000000AF00: BF850000

000000000000af04 <label_1BC1>:
	v_mov_b32_e32 v34, v178                                    // 00000000AF04: 7E4403B2
	v_mov_b32_e32 v35, v179                                    // 00000000AF08: 7E4603B3
	v_cmp_u_f32_e64 s[74:75], v34, v34                         // 00000000AF0C: D048004A 00024522
	v_bfe_u32 v226, v34, 16, 1                                 // 00000000AF14: D1C800E2 02052122
	v_add3_u32 v226, v34, v226, v229                           // 00000000AF1C: D1FF00E2 0797C522
	v_cndmask_b32_e64 v32, v226, v228, s[74:75]                // 00000000AF24: D1000020 012BC9E2
	v_lshrrev_b32_e32 v32, 16, v32                             // 00000000AF2C: 20404090
	v_cmp_u_f32_e64 s[74:75], v35, v35                         // 00000000AF30: D048004A 00024723
	v_bfe_u32 v226, v35, 16, 1                                 // 00000000AF38: D1C800E2 02052123
	v_add3_u32 v226, v35, v226, v229                           // 00000000AF40: D1FF00E2 0797C523
	v_cndmask_b32_e64 v33, v226, v228, s[74:75]                // 00000000AF48: D1000021 012BC9E2
	v_and_or_b32 v178, v33, v227, v32                          // 00000000AF50: D20100B2 0483C721
	v_mov_b32_e32 v34, v180                                    // 00000000AF58: 7E4403B4
	v_mov_b32_e32 v35, v181                                    // 00000000AF5C: 7E4603B5
	v_cmp_u_f32_e64 s[74:75], v34, v34                         // 00000000AF60: D048004A 00024522
	v_bfe_u32 v226, v34, 16, 1                                 // 00000000AF68: D1C800E2 02052122
	v_add3_u32 v226, v34, v226, v229                           // 00000000AF70: D1FF00E2 0797C522
	v_cndmask_b32_e64 v32, v226, v228, s[74:75]                // 00000000AF78: D1000020 012BC9E2
	v_lshrrev_b32_e32 v32, 16, v32                             // 00000000AF80: 20404090
	v_cmp_u_f32_e64 s[74:75], v35, v35                         // 00000000AF84: D048004A 00024723
	v_bfe_u32 v226, v35, 16, 1                                 // 00000000AF8C: D1C800E2 02052123
	v_add3_u32 v226, v35, v226, v229                           // 00000000AF94: D1FF00E2 0797C523
	v_cndmask_b32_e64 v33, v226, v228, s[74:75]                // 00000000AF9C: D1000021 012BC9E2
	v_and_or_b32 v179, v33, v227, v32                          // 00000000AFA4: D20100B3 0483C721
	v_mov_b32_e32 v34, v182                                    // 00000000AFAC: 7E4403B6
	v_mov_b32_e32 v35, v183                                    // 00000000AFB0: 7E4603B7
	v_cmp_u_f32_e64 s[74:75], v34, v34                         // 00000000AFB4: D048004A 00024522
	v_bfe_u32 v226, v34, 16, 1                                 // 00000000AFBC: D1C800E2 02052122
	v_add3_u32 v226, v34, v226, v229                           // 00000000AFC4: D1FF00E2 0797C522
	v_cndmask_b32_e64 v32, v226, v228, s[74:75]                // 00000000AFCC: D1000020 012BC9E2
	v_lshrrev_b32_e32 v32, 16, v32                             // 00000000AFD4: 20404090
	v_cmp_u_f32_e64 s[74:75], v35, v35                         // 00000000AFD8: D048004A 00024723
	v_bfe_u32 v226, v35, 16, 1                                 // 00000000AFE0: D1C800E2 02052123
	v_add3_u32 v226, v35, v226, v229                           // 00000000AFE8: D1FF00E2 0797C523
	v_cndmask_b32_e64 v33, v226, v228, s[74:75]                // 00000000AFF0: D1000021 012BC9E2
	v_and_or_b32 v180, v33, v227, v32                          // 00000000AFF8: D20100B4 0483C721
	v_mov_b32_e32 v34, v184                                    // 00000000B000: 7E4403B8
	v_mov_b32_e32 v35, v185                                    // 00000000B004: 7E4603B9
	v_cmp_u_f32_e64 s[74:75], v34, v34                         // 00000000B008: D048004A 00024522
	v_bfe_u32 v226, v34, 16, 1                                 // 00000000B010: D1C800E2 02052122
	v_add3_u32 v226, v34, v226, v229                           // 00000000B018: D1FF00E2 0797C522
	v_cndmask_b32_e64 v32, v226, v228, s[74:75]                // 00000000B020: D1000020 012BC9E2
	v_lshrrev_b32_e32 v32, 16, v32                             // 00000000B028: 20404090
	v_cmp_u_f32_e64 s[74:75], v35, v35                         // 00000000B02C: D048004A 00024723
	v_bfe_u32 v226, v35, 16, 1                                 // 00000000B034: D1C800E2 02052123
	v_add3_u32 v226, v35, v226, v229                           // 00000000B03C: D1FF00E2 0797C523
	v_cndmask_b32_e64 v33, v226, v228, s[74:75]                // 00000000B044: D1000021 012BC9E2
	v_and_or_b32 v181, v33, v227, v32                          // 00000000B04C: D20100B5 0483C721
	v_mov_b32_e32 v34, v186                                    // 00000000B054: 7E4403BA
	v_mov_b32_e32 v35, v187                                    // 00000000B058: 7E4603BB
	v_cmp_u_f32_e64 s[74:75], v34, v34                         // 00000000B05C: D048004A 00024522
	v_bfe_u32 v226, v34, 16, 1                                 // 00000000B064: D1C800E2 02052122
	v_add3_u32 v226, v34, v226, v229                           // 00000000B06C: D1FF00E2 0797C522
	v_cndmask_b32_e64 v32, v226, v228, s[74:75]                // 00000000B074: D1000020 012BC9E2
	v_lshrrev_b32_e32 v32, 16, v32                             // 00000000B07C: 20404090
	v_cmp_u_f32_e64 s[74:75], v35, v35                         // 00000000B080: D048004A 00024723
	v_bfe_u32 v226, v35, 16, 1                                 // 00000000B088: D1C800E2 02052123
	v_add3_u32 v226, v35, v226, v229                           // 00000000B090: D1FF00E2 0797C523
	v_cndmask_b32_e64 v33, v226, v228, s[74:75]                // 00000000B098: D1000021 012BC9E2
	v_and_or_b32 v182, v33, v227, v32                          // 00000000B0A0: D20100B6 0483C721
	v_mov_b32_e32 v34, v188                                    // 00000000B0A8: 7E4403BC
	v_mov_b32_e32 v35, v189                                    // 00000000B0AC: 7E4603BD
	v_cmp_u_f32_e64 s[74:75], v34, v34                         // 00000000B0B0: D048004A 00024522
	v_bfe_u32 v226, v34, 16, 1                                 // 00000000B0B8: D1C800E2 02052122
	v_add3_u32 v226, v34, v226, v229                           // 00000000B0C0: D1FF00E2 0797C522
	v_cndmask_b32_e64 v32, v226, v228, s[74:75]                // 00000000B0C8: D1000020 012BC9E2
	v_lshrrev_b32_e32 v32, 16, v32                             // 00000000B0D0: 20404090
	v_cmp_u_f32_e64 s[74:75], v35, v35                         // 00000000B0D4: D048004A 00024723
	v_bfe_u32 v226, v35, 16, 1                                 // 00000000B0DC: D1C800E2 02052123
	v_add3_u32 v226, v35, v226, v229                           // 00000000B0E4: D1FF00E2 0797C523
	v_cndmask_b32_e64 v33, v226, v228, s[74:75]                // 00000000B0EC: D1000021 012BC9E2
	v_and_or_b32 v183, v33, v227, v32                          // 00000000B0F4: D20100B7 0483C721
	v_mov_b32_e32 v34, v190                                    // 00000000B0FC: 7E4403BE
	v_mov_b32_e32 v35, v191                                    // 00000000B100: 7E4603BF
	v_cmp_u_f32_e64 s[74:75], v34, v34                         // 00000000B104: D048004A 00024522
	v_bfe_u32 v226, v34, 16, 1                                 // 00000000B10C: D1C800E2 02052122
	v_add3_u32 v226, v34, v226, v229                           // 00000000B114: D1FF00E2 0797C522
	v_cndmask_b32_e64 v32, v226, v228, s[74:75]                // 00000000B11C: D1000020 012BC9E2
	v_lshrrev_b32_e32 v32, 16, v32                             // 00000000B124: 20404090
	v_cmp_u_f32_e64 s[74:75], v35, v35                         // 00000000B128: D048004A 00024723
	v_bfe_u32 v226, v35, 16, 1                                 // 00000000B130: D1C800E2 02052123
	v_add3_u32 v226, v35, v226, v229                           // 00000000B138: D1FF00E2 0797C523
	v_cndmask_b32_e64 v33, v226, v228, s[74:75]                // 00000000B140: D1000021 012BC9E2
	v_and_or_b32 v184, v33, v227, v32                          // 00000000B148: D20100B8 0483C721
	v_mov_b32_e32 v34, v192                                    // 00000000B150: 7E4403C0
	v_mov_b32_e32 v35, v193                                    // 00000000B154: 7E4603C1
	v_cmp_u_f32_e64 s[74:75], v34, v34                         // 00000000B158: D048004A 00024522
	v_bfe_u32 v226, v34, 16, 1                                 // 00000000B160: D1C800E2 02052122
	v_add3_u32 v226, v34, v226, v229                           // 00000000B168: D1FF00E2 0797C522
	v_cndmask_b32_e64 v32, v226, v228, s[74:75]                // 00000000B170: D1000020 012BC9E2
	v_lshrrev_b32_e32 v32, 16, v32                             // 00000000B178: 20404090
	v_cmp_u_f32_e64 s[74:75], v35, v35                         // 00000000B17C: D048004A 00024723
	v_bfe_u32 v226, v35, 16, 1                                 // 00000000B184: D1C800E2 02052123
	v_add3_u32 v226, v35, v226, v229                           // 00000000B18C: D1FF00E2 0797C523
	v_cndmask_b32_e64 v33, v226, v228, s[74:75]                // 00000000B194: D1000021 012BC9E2
	v_and_or_b32 v185, v33, v227, v32                          // 00000000B19C: D20100B9 0483C721
	ds_write_b64 v31, v[178:179]                               // 00000000B1A4: D89A0000 0000B21F
	ds_write_b64 v31, v[180:181] offset:544                    // 00000000B1AC: D89A0220 0000B41F
	ds_write_b64 v31, v[182:183] offset:1088                   // 00000000B1B4: D89A0440 0000B61F
	ds_write_b64 v31, v[184:185] offset:1632                   // 00000000B1BC: D89A0660 0000B81F
	s_waitcnt lgkmcnt(0)                                       // 00000000B1C4: BF8CC07F
	s_barrier                                                  // 00000000B1C8: BF8A0000
	ds_read_b64 v[178:179], v30                                // 00000000B1CC: D8EC0000 B200001E
	ds_read_b64 v[180:181], v30 offset:128                     // 00000000B1D4: D8EC0080 B400001E
	ds_read_b64 v[182:183], v30 offset:64                      // 00000000B1DC: D8EC0040 B600001E
	ds_read_b64 v[184:185], v30 offset:192                     // 00000000B1E4: D8EC00C0 B800001E
	s_waitcnt lgkmcnt(0)                                       // 00000000B1EC: BF8CC07F
	buffer_store_dwordx4 v[178:181], v14, s[40:43], 0 idxen    // 00000000B1F0: E07C2000 800AB20E
	s_mul_i32 s60, 2, s46                                      // 00000000B1F8: 923C2E82
	v_add_u32_e32 v14, s60, v14                                // 00000000B1FC: 681C1C3C
	buffer_store_dwordx4 v[182:185], v14, s[40:43], 0 idxen    // 00000000B200: E07C2000 800AB60E
	s_mul_i32 s60, 2, s46                                      // 00000000B208: 923C2E82
	v_add_u32_e32 v14, s60, v14                                // 00000000B20C: 681C1C3C
	s_mul_i32 s60, 12, s46                                     // 00000000B210: 923C2E8C
	v_add_u32_e32 v14, s60, v14                                // 00000000B214: 681C1C3C
	s_cmp_ge_i32 1, s73                                        // 00000000B218: BF034981
	s_cbranch_scc1 label_1E16                                  // 00000000B21C: BF85018E
	v_mov_b32_e32 v34, v194                                    // 00000000B220: 7E4403C2
	v_mov_b32_e32 v35, v195                                    // 00000000B224: 7E4603C3
	v_cmp_u_f32_e64 s[74:75], v34, v34                         // 00000000B228: D048004A 00024522
	v_bfe_u32 v226, v34, 16, 1                                 // 00000000B230: D1C800E2 02052122
	v_add3_u32 v226, v34, v226, v229                           // 00000000B238: D1FF00E2 0797C522
	v_cndmask_b32_e64 v32, v226, v228, s[74:75]                // 00000000B240: D1000020 012BC9E2
	v_lshrrev_b32_e32 v32, 16, v32                             // 00000000B248: 20404090
	v_cmp_u_f32_e64 s[74:75], v35, v35                         // 00000000B24C: D048004A 00024723
	v_bfe_u32 v226, v35, 16, 1                                 // 00000000B254: D1C800E2 02052123
	v_add3_u32 v226, v35, v226, v229                           // 00000000B25C: D1FF00E2 0797C523
	v_cndmask_b32_e64 v33, v226, v228, s[74:75]                // 00000000B264: D1000021 012BC9E2
	v_and_or_b32 v186, v33, v227, v32                          // 00000000B26C: D20100BA 0483C721
	v_mov_b32_e32 v34, v196                                    // 00000000B274: 7E4403C4
	v_mov_b32_e32 v35, v197                                    // 00000000B278: 7E4603C5
	v_cmp_u_f32_e64 s[74:75], v34, v34                         // 00000000B27C: D048004A 00024522
	v_bfe_u32 v226, v34, 16, 1                                 // 00000000B284: D1C800E2 02052122
	v_add3_u32 v226, v34, v226, v229                           // 00000000B28C: D1FF00E2 0797C522
	v_cndmask_b32_e64 v32, v226, v228, s[74:75]                // 00000000B294: D1000020 012BC9E2
	v_lshrrev_b32_e32 v32, 16, v32                             // 00000000B29C: 20404090
	v_cmp_u_f32_e64 s[74:75], v35, v35                         // 00000000B2A0: D048004A 00024723
	v_bfe_u32 v226, v35, 16, 1                                 // 00000000B2A8: D1C800E2 02052123
	v_add3_u32 v226, v35, v226, v229                           // 00000000B2B0: D1FF00E2 0797C523
	v_cndmask_b32_e64 v33, v226, v228, s[74:75]                // 00000000B2B8: D1000021 012BC9E2
	v_and_or_b32 v187, v33, v227, v32                          // 00000000B2C0: D20100BB 0483C721
	v_mov_b32_e32 v34, v198                                    // 00000000B2C8: 7E4403C6
	v_mov_b32_e32 v35, v199                                    // 00000000B2CC: 7E4603C7
	v_cmp_u_f32_e64 s[74:75], v34, v34                         // 00000000B2D0: D048004A 00024522
	v_bfe_u32 v226, v34, 16, 1                                 // 00000000B2D8: D1C800E2 02052122
	v_add3_u32 v226, v34, v226, v229                           // 00000000B2E0: D1FF00E2 0797C522
	v_cndmask_b32_e64 v32, v226, v228, s[74:75]                // 00000000B2E8: D1000020 012BC9E2
	v_lshrrev_b32_e32 v32, 16, v32                             // 00000000B2F0: 20404090
	v_cmp_u_f32_e64 s[74:75], v35, v35                         // 00000000B2F4: D048004A 00024723
	v_bfe_u32 v226, v35, 16, 1                                 // 00000000B2FC: D1C800E2 02052123
	v_add3_u32 v226, v35, v226, v229                           // 00000000B304: D1FF00E2 0797C523
	v_cndmask_b32_e64 v33, v226, v228, s[74:75]                // 00000000B30C: D1000021 012BC9E2
	v_and_or_b32 v188, v33, v227, v32                          // 00000000B314: D20100BC 0483C721
	v_mov_b32_e32 v34, v200                                    // 00000000B31C: 7E4403C8
	v_mov_b32_e32 v35, v201                                    // 00000000B320: 7E4603C9
	v_cmp_u_f32_e64 s[74:75], v34, v34                         // 00000000B324: D048004A 00024522
	v_bfe_u32 v226, v34, 16, 1                                 // 00000000B32C: D1C800E2 02052122
	v_add3_u32 v226, v34, v226, v229                           // 00000000B334: D1FF00E2 0797C522
	v_cndmask_b32_e64 v32, v226, v228, s[74:75]                // 00000000B33C: D1000020 012BC9E2
	v_lshrrev_b32_e32 v32, 16, v32                             // 00000000B344: 20404090
	v_cmp_u_f32_e64 s[74:75], v35, v35                         // 00000000B348: D048004A 00024723
	v_bfe_u32 v226, v35, 16, 1                                 // 00000000B350: D1C800E2 02052123
	v_add3_u32 v226, v35, v226, v229                           // 00000000B358: D1FF00E2 0797C523
	v_cndmask_b32_e64 v33, v226, v228, s[74:75]                // 00000000B360: D1000021 012BC9E2
	v_and_or_b32 v189, v33, v227, v32                          // 00000000B368: D20100BD 0483C721
	v_mov_b32_e32 v34, v202                                    // 00000000B370: 7E4403CA
	v_mov_b32_e32 v35, v203                                    // 00000000B374: 7E4603CB
	v_cmp_u_f32_e64 s[74:75], v34, v34                         // 00000000B378: D048004A 00024522
	v_bfe_u32 v226, v34, 16, 1                                 // 00000000B380: D1C800E2 02052122
	v_add3_u32 v226, v34, v226, v229                           // 00000000B388: D1FF00E2 0797C522
	v_cndmask_b32_e64 v32, v226, v228, s[74:75]                // 00000000B390: D1000020 012BC9E2
	v_lshrrev_b32_e32 v32, 16, v32                             // 00000000B398: 20404090
	v_cmp_u_f32_e64 s[74:75], v35, v35                         // 00000000B39C: D048004A 00024723
	v_bfe_u32 v226, v35, 16, 1                                 // 00000000B3A4: D1C800E2 02052123
	v_add3_u32 v226, v35, v226, v229                           // 00000000B3AC: D1FF00E2 0797C523
	v_cndmask_b32_e64 v33, v226, v228, s[74:75]                // 00000000B3B4: D1000021 012BC9E2
	v_and_or_b32 v190, v33, v227, v32                          // 00000000B3BC: D20100BE 0483C721
	v_mov_b32_e32 v34, v204                                    // 00000000B3C4: 7E4403CC
	v_mov_b32_e32 v35, v205                                    // 00000000B3C8: 7E4603CD
	v_cmp_u_f32_e64 s[74:75], v34, v34                         // 00000000B3CC: D048004A 00024522
	v_bfe_u32 v226, v34, 16, 1                                 // 00000000B3D4: D1C800E2 02052122
	v_add3_u32 v226, v34, v226, v229                           // 00000000B3DC: D1FF00E2 0797C522
	v_cndmask_b32_e64 v32, v226, v228, s[74:75]                // 00000000B3E4: D1000020 012BC9E2
	v_lshrrev_b32_e32 v32, 16, v32                             // 00000000B3EC: 20404090
	v_cmp_u_f32_e64 s[74:75], v35, v35                         // 00000000B3F0: D048004A 00024723
	v_bfe_u32 v226, v35, 16, 1                                 // 00000000B3F8: D1C800E2 02052123
	v_add3_u32 v226, v35, v226, v229                           // 00000000B400: D1FF00E2 0797C523
	v_cndmask_b32_e64 v33, v226, v228, s[74:75]                // 00000000B408: D1000021 012BC9E2
	v_and_or_b32 v191, v33, v227, v32                          // 00000000B410: D20100BF 0483C721
	v_mov_b32_e32 v34, v206                                    // 00000000B418: 7E4403CE
	v_mov_b32_e32 v35, v207                                    // 00000000B41C: 7E4603CF
	v_cmp_u_f32_e64 s[74:75], v34, v34                         // 00000000B420: D048004A 00024522
	v_bfe_u32 v226, v34, 16, 1                                 // 00000000B428: D1C800E2 02052122
	v_add3_u32 v226, v34, v226, v229                           // 00000000B430: D1FF00E2 0797C522
	v_cndmask_b32_e64 v32, v226, v228, s[74:75]                // 00000000B438: D1000020 012BC9E2
	v_lshrrev_b32_e32 v32, 16, v32                             // 00000000B440: 20404090
	v_cmp_u_f32_e64 s[74:75], v35, v35                         // 00000000B444: D048004A 00024723
	v_bfe_u32 v226, v35, 16, 1                                 // 00000000B44C: D1C800E2 02052123
	v_add3_u32 v226, v35, v226, v229                           // 00000000B454: D1FF00E2 0797C523
	v_cndmask_b32_e64 v33, v226, v228, s[74:75]                // 00000000B45C: D1000021 012BC9E2
	v_and_or_b32 v192, v33, v227, v32                          // 00000000B464: D20100C0 0483C721
	v_mov_b32_e32 v34, v208                                    // 00000000B46C: 7E4403D0
	v_mov_b32_e32 v35, v209                                    // 00000000B470: 7E4603D1
	v_cmp_u_f32_e64 s[74:75], v34, v34                         // 00000000B474: D048004A 00024522
	v_bfe_u32 v226, v34, 16, 1                                 // 00000000B47C: D1C800E2 02052122
	v_add3_u32 v226, v34, v226, v229                           // 00000000B484: D1FF00E2 0797C522
	v_cndmask_b32_e64 v32, v226, v228, s[74:75]                // 00000000B48C: D1000020 012BC9E2
	v_lshrrev_b32_e32 v32, 16, v32                             // 00000000B494: 20404090
	v_cmp_u_f32_e64 s[74:75], v35, v35                         // 00000000B498: D048004A 00024723
	v_bfe_u32 v226, v35, 16, 1                                 // 00000000B4A0: D1C800E2 02052123
	v_add3_u32 v226, v35, v226, v229                           // 00000000B4A8: D1FF00E2 0797C523
	v_cndmask_b32_e64 v33, v226, v228, s[74:75]                // 00000000B4B0: D1000021 012BC9E2
	v_and_or_b32 v193, v33, v227, v32                          // 00000000B4B8: D20100C1 0483C721
	ds_write_b64 v31, v[186:187] offset:8704                   // 00000000B4C0: D89A2200 0000BA1F
	ds_write_b64 v31, v[188:189] offset:9248                   // 00000000B4C8: D89A2420 0000BC1F
	ds_write_b64 v31, v[190:191] offset:9792                   // 00000000B4D0: D89A2640 0000BE1F
	ds_write_b64 v31, v[192:193] offset:10336                  // 00000000B4D8: D89A2860 0000C01F
	s_waitcnt lgkmcnt(0)                                       // 00000000B4E0: BF8CC07F
	s_barrier                                                  // 00000000B4E4: BF8A0000
	ds_read_b64 v[186:187], v30 offset:8704                    // 00000000B4E8: D8EC2200 BA00001E
	ds_read_b64 v[188:189], v30 offset:8832                    // 00000000B4F0: D8EC2280 BC00001E
	ds_read_b64 v[190:191], v30 offset:8768                    // 00000000B4F8: D8EC2240 BE00001E
	ds_read_b64 v[192:193], v30 offset:8896                    // 00000000B500: D8EC22C0 C000001E
	s_waitcnt lgkmcnt(0)                                       // 00000000B508: BF8CC07F
	buffer_store_dwordx4 v[186:189], v14, s[40:43], 0 idxen    // 00000000B50C: E07C2000 800ABA0E
	s_mul_i32 s60, 2, s46                                      // 00000000B514: 923C2E82
	v_add_u32_e32 v14, s60, v14                                // 00000000B518: 681C1C3C
	buffer_store_dwordx4 v[190:193], v14, s[40:43], 0 idxen    // 00000000B51C: E07C2000 800ABE0E
	s_mul_i32 s60, 2, s46                                      // 00000000B524: 923C2E82
	v_add_u32_e32 v14, s60, v14                                // 00000000B528: 681C1C3C
	s_mul_i32 s60, 12, s46                                     // 00000000B52C: 923C2E8C
	v_add_u32_e32 v14, s60, v14                                // 00000000B530: 681C1C3C
	s_cmp_ge_i32 2, s73                                        // 00000000B534: BF034982
	s_cbranch_scc1 label_1E16                                  // 00000000B538: BF8500C7
	v_mov_b32_e32 v34, v210                                    // 00000000B53C: 7E4403D2
	v_mov_b32_e32 v35, v211                                    // 00000000B540: 7E4603D3
	v_cmp_u_f32_e64 s[74:75], v34, v34                         // 00000000B544: D048004A 00024522
	v_bfe_u32 v226, v34, 16, 1                                 // 00000000B54C: D1C800E2 02052122
	v_add3_u32 v226, v34, v226, v229                           // 00000000B554: D1FF00E2 0797C522
	v_cndmask_b32_e64 v32, v226, v228, s[74:75]                // 00000000B55C: D1000020 012BC9E2
	v_lshrrev_b32_e32 v32, 16, v32                             // 00000000B564: 20404090
	v_cmp_u_f32_e64 s[74:75], v35, v35                         // 00000000B568: D048004A 00024723
	v_bfe_u32 v226, v35, 16, 1                                 // 00000000B570: D1C800E2 02052123
	v_add3_u32 v226, v35, v226, v229                           // 00000000B578: D1FF00E2 0797C523
	v_cndmask_b32_e64 v33, v226, v228, s[74:75]                // 00000000B580: D1000021 012BC9E2
	v_and_or_b32 v194, v33, v227, v32                          // 00000000B588: D20100C2 0483C721
	v_mov_b32_e32 v34, v212                                    // 00000000B590: 7E4403D4
	v_mov_b32_e32 v35, v213                                    // 00000000B594: 7E4603D5
	v_cmp_u_f32_e64 s[74:75], v34, v34                         // 00000000B598: D048004A 00024522
	v_bfe_u32 v226, v34, 16, 1                                 // 00000000B5A0: D1C800E2 02052122
	v_add3_u32 v226, v34, v226, v229                           // 00000000B5A8: D1FF00E2 0797C522
	v_cndmask_b32_e64 v32, v226, v228, s[74:75]                // 00000000B5B0: D1000020 012BC9E2
	v_lshrrev_b32_e32 v32, 16, v32                             // 00000000B5B8: 20404090
	v_cmp_u_f32_e64 s[74:75], v35, v35                         // 00000000B5BC: D048004A 00024723
	v_bfe_u32 v226, v35, 16, 1                                 // 00000000B5C4: D1C800E2 02052123
	v_add3_u32 v226, v35, v226, v229                           // 00000000B5CC: D1FF00E2 0797C523
	v_cndmask_b32_e64 v33, v226, v228, s[74:75]                // 00000000B5D4: D1000021 012BC9E2
	v_and_or_b32 v195, v33, v227, v32                          // 00000000B5DC: D20100C3 0483C721
	v_mov_b32_e32 v34, v214                                    // 00000000B5E4: 7E4403D6
	v_mov_b32_e32 v35, v215                                    // 00000000B5E8: 7E4603D7
	v_cmp_u_f32_e64 s[74:75], v34, v34                         // 00000000B5EC: D048004A 00024522
	v_bfe_u32 v226, v34, 16, 1                                 // 00000000B5F4: D1C800E2 02052122
	v_add3_u32 v226, v34, v226, v229                           // 00000000B5FC: D1FF00E2 0797C522
	v_cndmask_b32_e64 v32, v226, v228, s[74:75]                // 00000000B604: D1000020 012BC9E2
	v_lshrrev_b32_e32 v32, 16, v32                             // 00000000B60C: 20404090
	v_cmp_u_f32_e64 s[74:75], v35, v35                         // 00000000B610: D048004A 00024723
	v_bfe_u32 v226, v35, 16, 1                                 // 00000000B618: D1C800E2 02052123
	v_add3_u32 v226, v35, v226, v229                           // 00000000B620: D1FF00E2 0797C523
	v_cndmask_b32_e64 v33, v226, v228, s[74:75]                // 00000000B628: D1000021 012BC9E2
	v_and_or_b32 v196, v33, v227, v32                          // 00000000B630: D20100C4 0483C721
	v_mov_b32_e32 v34, v216                                    // 00000000B638: 7E4403D8
	v_mov_b32_e32 v35, v217                                    // 00000000B63C: 7E4603D9
	v_cmp_u_f32_e64 s[74:75], v34, v34                         // 00000000B640: D048004A 00024522
	v_bfe_u32 v226, v34, 16, 1                                 // 00000000B648: D1C800E2 02052122
	v_add3_u32 v226, v34, v226, v229                           // 00000000B650: D1FF00E2 0797C522
	v_cndmask_b32_e64 v32, v226, v228, s[74:75]                // 00000000B658: D1000020 012BC9E2
	v_lshrrev_b32_e32 v32, 16, v32                             // 00000000B660: 20404090
	v_cmp_u_f32_e64 s[74:75], v35, v35                         // 00000000B664: D048004A 00024723
	v_bfe_u32 v226, v35, 16, 1                                 // 00000000B66C: D1C800E2 02052123
	v_add3_u32 v226, v35, v226, v229                           // 00000000B674: D1FF00E2 0797C523
	v_cndmask_b32_e64 v33, v226, v228, s[74:75]                // 00000000B67C: D1000021 012BC9E2
	v_and_or_b32 v197, v33, v227, v32                          // 00000000B684: D20100C5 0483C721
	v_mov_b32_e32 v34, v218                                    // 00000000B68C: 7E4403DA
	v_mov_b32_e32 v35, v219                                    // 00000000B690: 7E4603DB
	v_cmp_u_f32_e64 s[74:75], v34, v34                         // 00000000B694: D048004A 00024522
	v_bfe_u32 v226, v34, 16, 1                                 // 00000000B69C: D1C800E2 02052122
	v_add3_u32 v226, v34, v226, v229                           // 00000000B6A4: D1FF00E2 0797C522
	v_cndmask_b32_e64 v32, v226, v228, s[74:75]                // 00000000B6AC: D1000020 012BC9E2
	v_lshrrev_b32_e32 v32, 16, v32                             // 00000000B6B4: 20404090
	v_cmp_u_f32_e64 s[74:75], v35, v35                         // 00000000B6B8: D048004A 00024723
	v_bfe_u32 v226, v35, 16, 1                                 // 00000000B6C0: D1C800E2 02052123
	v_add3_u32 v226, v35, v226, v229                           // 00000000B6C8: D1FF00E2 0797C523
	v_cndmask_b32_e64 v33, v226, v228, s[74:75]                // 00000000B6D0: D1000021 012BC9E2
	v_and_or_b32 v198, v33, v227, v32                          // 00000000B6D8: D20100C6 0483C721
	v_mov_b32_e32 v34, v220                                    // 00000000B6E0: 7E4403DC
	v_mov_b32_e32 v35, v221                                    // 00000000B6E4: 7E4603DD
	v_cmp_u_f32_e64 s[74:75], v34, v34                         // 00000000B6E8: D048004A 00024522
	v_bfe_u32 v226, v34, 16, 1                                 // 00000000B6F0: D1C800E2 02052122
	v_add3_u32 v226, v34, v226, v229                           // 00000000B6F8: D1FF00E2 0797C522
	v_cndmask_b32_e64 v32, v226, v228, s[74:75]                // 00000000B700: D1000020 012BC9E2
	v_lshrrev_b32_e32 v32, 16, v32                             // 00000000B708: 20404090
	v_cmp_u_f32_e64 s[74:75], v35, v35                         // 00000000B70C: D048004A 00024723
	v_bfe_u32 v226, v35, 16, 1                                 // 00000000B714: D1C800E2 02052123
	v_add3_u32 v226, v35, v226, v229                           // 00000000B71C: D1FF00E2 0797C523
	v_cndmask_b32_e64 v33, v226, v228, s[74:75]                // 00000000B724: D1000021 012BC9E2
	v_and_or_b32 v199, v33, v227, v32                          // 00000000B72C: D20100C7 0483C721
	v_mov_b32_e32 v34, v222                                    // 00000000B734: 7E4403DE
	v_mov_b32_e32 v35, v223                                    // 00000000B738: 7E4603DF
	v_cmp_u_f32_e64 s[74:75], v34, v34                         // 00000000B73C: D048004A 00024522
	v_bfe_u32 v226, v34, 16, 1                                 // 00000000B744: D1C800E2 02052122
	v_add3_u32 v226, v34, v226, v229                           // 00000000B74C: D1FF00E2 0797C522
	v_cndmask_b32_e64 v32, v226, v228, s[74:75]                // 00000000B754: D1000020 012BC9E2
	v_lshrrev_b32_e32 v32, 16, v32                             // 00000000B75C: 20404090
	v_cmp_u_f32_e64 s[74:75], v35, v35                         // 00000000B760: D048004A 00024723
	v_bfe_u32 v226, v35, 16, 1                                 // 00000000B768: D1C800E2 02052123
	v_add3_u32 v226, v35, v226, v229                           // 00000000B770: D1FF00E2 0797C523
	v_cndmask_b32_e64 v33, v226, v228, s[74:75]                // 00000000B778: D1000021 012BC9E2
	v_and_or_b32 v200, v33, v227, v32                          // 00000000B780: D20100C8 0483C721
	v_mov_b32_e32 v34, v224                                    // 00000000B788: 7E4403E0
	v_mov_b32_e32 v35, v225                                    // 00000000B78C: 7E4603E1
	v_cmp_u_f32_e64 s[74:75], v34, v34                         // 00000000B790: D048004A 00024522
	v_bfe_u32 v226, v34, 16, 1                                 // 00000000B798: D1C800E2 02052122
	v_add3_u32 v226, v34, v226, v229                           // 00000000B7A0: D1FF00E2 0797C522
	v_cndmask_b32_e64 v32, v226, v228, s[74:75]                // 00000000B7A8: D1000020 012BC9E2
	v_lshrrev_b32_e32 v32, 16, v32                             // 00000000B7B0: 20404090
	v_cmp_u_f32_e64 s[74:75], v35, v35                         // 00000000B7B4: D048004A 00024723
	v_bfe_u32 v226, v35, 16, 1                                 // 00000000B7BC: D1C800E2 02052123
	v_add3_u32 v226, v35, v226, v229                           // 00000000B7C4: D1FF00E2 0797C523
	v_cndmask_b32_e64 v33, v226, v228, s[74:75]                // 00000000B7CC: D1000021 012BC9E2
	v_and_or_b32 v201, v33, v227, v32                          // 00000000B7D4: D20100C9 0483C721
	ds_write_b64 v31, v[194:195] offset:17408                  // 00000000B7DC: D89A4400 0000C21F
	ds_write_b64 v31, v[196:197] offset:17952                  // 00000000B7E4: D89A4620 0000C41F
	ds_write_b64 v31, v[198:199] offset:18496                  // 00000000B7EC: D89A4840 0000C61F
	ds_write_b64 v31, v[200:201] offset:19040                  // 00000000B7F4: D89A4A60 0000C81F
	s_waitcnt lgkmcnt(0)                                       // 00000000B7FC: BF8CC07F
	s_barrier                                                  // 00000000B800: BF8A0000
	ds_read_b64 v[194:195], v30 offset:17408                   // 00000000B804: D8EC4400 C200001E
	ds_read_b64 v[196:197], v30 offset:17536                   // 00000000B80C: D8EC4480 C400001E
	ds_read_b64 v[198:199], v30 offset:17472                   // 00000000B814: D8EC4440 C600001E
	ds_read_b64 v[200:201], v30 offset:17600                   // 00000000B81C: D8EC44C0 C800001E
	s_waitcnt lgkmcnt(0)                                       // 00000000B824: BF8CC07F
	buffer_store_dwordx4 v[194:197], v14, s[40:43], 0 idxen    // 00000000B828: E07C2000 800AC20E
	s_mul_i32 s60, 2, s46                                      // 00000000B830: 923C2E82
	v_add_u32_e32 v14, s60, v14                                // 00000000B834: 681C1C3C
	buffer_store_dwordx4 v[198:201], v14, s[40:43], 0 idxen    // 00000000B838: E07C2000 800AC60E
	s_mul_i32 s60, 2, s46                                      // 00000000B840: 923C2E82
	v_add_u32_e32 v14, s60, v14                                // 00000000B844: 681C1C3C
	s_mul_i32 s60, 12, s46                                     // 00000000B848: 923C2E8C
	v_add_u32_e32 v14, s60, v14                                // 00000000B84C: 681C1C3C
	s_cmp_ge_i32 3, s73                                        // 00000000B850: BF034983
	s_cbranch_scc1 label_1E16                                  // 00000000B854: BF850000

000000000000b858 <label_1E16>:
	s_waitcnt vmcnt(0) expcnt(0) lgkmcnt(0)                    // 00000000B858: BF8C0000
	s_endpgm                                                   // 00000000B85C: BF810000
